;; amdgpu-corpus repo=ROCm/rocFFT kind=compiled arch=gfx906 opt=O3
	.text
	.amdgcn_target "amdgcn-amd-amdhsa--gfx906"
	.amdhsa_code_object_version 6
	.protected	bluestein_single_back_len792_dim1_dp_op_CI_CI ; -- Begin function bluestein_single_back_len792_dim1_dp_op_CI_CI
	.globl	bluestein_single_back_len792_dim1_dp_op_CI_CI
	.p2align	8
	.type	bluestein_single_back_len792_dim1_dp_op_CI_CI,@function
bluestein_single_back_len792_dim1_dp_op_CI_CI: ; @bluestein_single_back_len792_dim1_dp_op_CI_CI
; %bb.0:
	s_load_dwordx4 s[12:15], s[4:5], 0x28
	v_mul_u32_u24_e32 v1, 0x2e9, v0
	s_mov_b64 s[50:51], s[2:3]
	v_lshrrev_b32_e32 v36, 16, v1
	s_mov_b64 s[48:49], s[0:1]
	v_lshl_add_u32 v205, s6, 1, v36
	v_mov_b32_e32 v206, 0
	s_add_u32 s48, s48, s7
	s_waitcnt lgkmcnt(0)
	v_cmp_gt_u64_e32 vcc, s[12:13], v[205:206]
	s_addc_u32 s49, s49, 0
	s_and_saveexec_b64 s[0:1], vcc
	s_cbranch_execz .LBB0_39
; %bb.1:
	s_load_dwordx4 s[8:11], s[4:5], 0x18
	s_load_dwordx2 s[12:13], s[4:5], 0x0
	v_mul_lo_u16_e32 v1, 0x58, v36
	v_sub_u16_e32 v156, v0, v1
	s_waitcnt lgkmcnt(0)
	s_load_dwordx4 s[0:3], s[8:9], 0x0
	s_waitcnt lgkmcnt(0)
	v_mad_u64_u32 v[0:1], s[6:7], s2, v205, 0
	v_mad_u64_u32 v[2:3], s[6:7], s0, v156, 0
	s_mul_i32 s6, s1, 0x18c
	s_mul_hi_u32 s7, s0, 0x18c
	v_mad_u64_u32 v[4:5], s[2:3], s3, v205, v[1:2]
	s_add_i32 s7, s7, s6
	s_mul_i32 s6, s0, 0x18c
	v_mad_u64_u32 v[5:6], s[2:3], s1, v156, v[3:4]
	v_mov_b32_e32 v1, v4
	v_lshlrev_b64 v[0:1], 4, v[0:1]
	v_mov_b32_e32 v6, s15
	v_mov_b32_e32 v3, v5
	v_add_co_u32_e32 v4, vcc, s14, v0
	v_addc_co_u32_e32 v5, vcc, v6, v1, vcc
	v_lshlrev_b64 v[0:1], 4, v[2:3]
	v_mov_b32_e32 v2, s13
	v_add_co_u32_e32 v0, vcc, v4, v0
	v_lshlrev_b32_e32 v4, 4, v156
	v_add_co_u32_e64 v255, s[2:3], s12, v4
	v_addc_co_u32_e32 v1, vcc, v5, v1, vcc
	v_addc_co_u32_e64 v195, vcc, 0, v2, s[2:3]
	s_lshl_b64 s[14:15], s[6:7], 4
	global_load_dwordx4 v[37:40], v[0:1], off
	v_mov_b32_e32 v5, s15
	v_add_co_u32_e32 v0, vcc, s14, v0
	v_addc_co_u32_e32 v1, vcc, v1, v5, vcc
	s_movk_i32 s6, 0x1000
	v_add_co_u32_e32 v24, vcc, s6, v255
	v_addc_co_u32_e32 v25, vcc, 0, v195, vcc
	global_load_dwordx4 v[41:44], v[0:1], off
	global_load_dwordx4 v[201:204], v[24:25], off offset:2240
	global_load_dwordx4 v[28:31], v4, s[12:13]
	global_load_dwordx4 v[19:22], v4, s[12:13] offset:1408
	s_mul_hi_u32 s6, s0, 0xfffffecc
	s_mulk_i32 s1, 0xfecc
	s_sub_i32 s6, s6, s0
	s_add_i32 s1, s6, s1
	s_mulk_i32 s0, 0xfecc
	s_lshl_b64 s[16:17], s[0:1], 4
	v_mov_b32_e32 v6, s17
	v_add_co_u32_e32 v0, vcc, s16, v0
	v_addc_co_u32_e32 v1, vcc, v1, v6, vcc
	v_add_co_u32_e32 v2, vcc, s14, v0
	v_addc_co_u32_e32 v3, vcc, v1, v5, vcc
	global_load_dwordx4 v[45:48], v[0:1], off
	global_load_dwordx4 v[49:52], v[2:3], off
	global_load_dwordx4 v[15:18], v[24:25], off offset:3648
	v_add_co_u32_e32 v8, vcc, s16, v2
	v_addc_co_u32_e32 v9, vcc, v3, v6, vcc
	v_add_co_u32_e32 v12, vcc, s14, v8
	v_addc_co_u32_e32 v13, vcc, v9, v5, vcc
	s_movk_i32 s0, 0x2000
	v_add_co_u32_e32 v32, vcc, s0, v255
	v_addc_co_u32_e32 v33, vcc, 0, v195, vcc
	v_add_co_u32_e32 v26, vcc, s16, v12
	v_addc_co_u32_e32 v27, vcc, v13, v6, vcc
	v_add_co_u32_e32 v34, vcc, s14, v26
	global_load_dwordx4 v[53:56], v[8:9], off
	global_load_dwordx4 v[85:88], v4, s[12:13] offset:2816
	global_load_dwordx4 v[57:60], v[12:13], off
	v_addc_co_u32_e32 v35, vcc, v27, v5, vcc
	global_load_dwordx4 v[7:10], v[32:33], off offset:960
	global_load_dwordx4 v[61:64], v[26:27], off
	global_load_dwordx4 v[11:14], v[24:25], off offset:128
	s_nop 0
	global_load_dwordx4 v[23:26], v[32:33], off offset:2368
	global_load_dwordx4 v[65:68], v[34:35], off
	v_and_b32_e32 v0, 1, v36
	s_load_dwordx4 s[8:11], s[10:11], 0x0
	v_mov_b32_e32 v1, 0x318
	s_load_dwordx2 s[6:7], s[4:5], 0x38
	v_cmp_eq_u32_e32 vcc, 1, v0
	v_cndmask_b32_e32 v0, 0, v1, vcc
	v_lshlrev_b32_e32 v190, 4, v0
	v_add_u32_e32 v189, v190, v4
	v_cmp_gt_u16_e64 s[0:1], 44, v156
	s_waitcnt vmcnt(12)
	v_mul_f64 v[69:70], v[39:40], v[30:31]
	v_mul_f64 v[71:72], v[37:38], v[30:31]
	;; [unrolled: 1-line block ×4, first 2 shown]
	v_fma_f64 v[36:37], v[37:38], v[28:29], v[69:70]
	buffer_store_dword v28, off, s[48:51], 0 offset:80 ; 4-byte Folded Spill
	s_nop 0
	buffer_store_dword v29, off, s[48:51], 0 offset:84 ; 4-byte Folded Spill
	buffer_store_dword v30, off, s[48:51], 0 offset:88 ; 4-byte Folded Spill
	;; [unrolled: 1-line block ×3, first 2 shown]
	s_waitcnt vmcnt(14)
	v_mul_f64 v[69:70], v[47:48], v[21:22]
	v_mul_f64 v[77:78], v[45:46], v[21:22]
	s_waitcnt vmcnt(12)
	v_mul_f64 v[79:80], v[51:52], v[17:18]
	v_mul_f64 v[81:82], v[49:50], v[17:18]
	s_waitcnt vmcnt(4)
	v_mul_f64 v[83:84], v[65:66], v[25:26]
	v_fma_f64 v[38:39], v[39:40], v[28:29], -v[71:72]
	v_fma_f64 v[40:41], v[41:42], v[201:202], v[73:74]
	v_fma_f64 v[42:43], v[43:44], v[201:202], -v[75:76]
	v_fma_f64 v[44:45], v[45:46], v[19:20], v[69:70]
	buffer_store_dword v19, off, s[48:51], 0 offset:48 ; 4-byte Folded Spill
	s_nop 0
	buffer_store_dword v20, off, s[48:51], 0 offset:52 ; 4-byte Folded Spill
	buffer_store_dword v21, off, s[48:51], 0 offset:56 ; 4-byte Folded Spill
	;; [unrolled: 1-line block ×3, first 2 shown]
	v_mul_f64 v[69:70], v[55:56], v[87:88]
	v_mul_f64 v[71:72], v[53:54], v[87:88]
	;; [unrolled: 1-line block ×4, first 2 shown]
	v_fma_f64 v[46:47], v[47:48], v[19:20], -v[77:78]
	v_fma_f64 v[48:49], v[49:50], v[15:16], v[79:80]
	buffer_store_dword v15, off, s[48:51], 0 offset:32 ; 4-byte Folded Spill
	s_nop 0
	buffer_store_dword v16, off, s[48:51], 0 offset:36 ; 4-byte Folded Spill
	buffer_store_dword v17, off, s[48:51], 0 offset:40 ; 4-byte Folded Spill
	;; [unrolled: 1-line block ×3, first 2 shown]
	v_mul_f64 v[77:78], v[63:64], v[13:14]
	v_mul_f64 v[79:80], v[61:62], v[13:14]
	v_fma_f64 v[50:51], v[51:52], v[15:16], -v[81:82]
	v_fma_f64 v[52:53], v[53:54], v[85:86], v[69:70]
	buffer_store_dword v85, off, s[48:51], 0 offset:164 ; 4-byte Folded Spill
	s_nop 0
	buffer_store_dword v86, off, s[48:51], 0 offset:168 ; 4-byte Folded Spill
	buffer_store_dword v87, off, s[48:51], 0 offset:172 ; 4-byte Folded Spill
	;; [unrolled: 1-line block ×3, first 2 shown]
	v_mul_f64 v[81:82], v[67:68], v[25:26]
	v_fma_f64 v[54:55], v[55:56], v[85:86], -v[71:72]
	v_fma_f64 v[56:57], v[57:58], v[7:8], v[73:74]
	buffer_store_dword v7, off, s[48:51], 0 ; 4-byte Folded Spill
	s_nop 0
	buffer_store_dword v8, off, s[48:51], 0 offset:4 ; 4-byte Folded Spill
	buffer_store_dword v9, off, s[48:51], 0 offset:8 ; 4-byte Folded Spill
	;; [unrolled: 1-line block ×3, first 2 shown]
	v_fma_f64 v[58:59], v[59:60], v[7:8], -v[75:76]
	v_fma_f64 v[60:61], v[61:62], v[11:12], v[77:78]
	buffer_store_dword v11, off, s[48:51], 0 offset:16 ; 4-byte Folded Spill
	s_nop 0
	buffer_store_dword v12, off, s[48:51], 0 offset:20 ; 4-byte Folded Spill
	buffer_store_dword v13, off, s[48:51], 0 offset:24 ; 4-byte Folded Spill
	;; [unrolled: 1-line block ×3, first 2 shown]
	v_fma_f64 v[62:63], v[63:64], v[11:12], -v[79:80]
	v_fma_f64 v[64:65], v[65:66], v[23:24], v[81:82]
	buffer_store_dword v23, off, s[48:51], 0 offset:64 ; 4-byte Folded Spill
	s_nop 0
	buffer_store_dword v24, off, s[48:51], 0 offset:68 ; 4-byte Folded Spill
	buffer_store_dword v25, off, s[48:51], 0 offset:72 ; 4-byte Folded Spill
	;; [unrolled: 1-line block ×3, first 2 shown]
	v_fma_f64 v[66:67], v[67:68], v[23:24], -v[83:84]
	ds_write_b128 v189, v[36:39]
	ds_write_b128 v189, v[40:43] offset:6336
	ds_write_b128 v189, v[44:47] offset:1408
	;; [unrolled: 1-line block ×7, first 2 shown]
	s_and_saveexec_b64 s[18:19], s[0:1]
	s_cbranch_execz .LBB0_3
; %bb.2:
	v_mov_b32_e32 v0, s17
	v_add_co_u32_e32 v42, vcc, s16, v34
	v_addc_co_u32_e32 v43, vcc, v35, v0, vcc
	v_add_co_u32_e32 v38, vcc, 0x1000, v255
	v_addc_co_u32_e32 v39, vcc, 0, v195, vcc
	global_load_dwordx4 v[34:37], v[42:43], off
	v_mov_b32_e32 v0, s15
	global_load_dwordx4 v[38:41], v[38:39], off offset:1536
	v_add_co_u32_e32 v50, vcc, s14, v42
	v_addc_co_u32_e32 v51, vcc, v43, v0, vcc
	global_load_dwordx4 v[42:45], v[32:33], off offset:3776
	global_load_dwordx4 v[46:49], v[50:51], off
	s_waitcnt vmcnt(2)
	v_mul_f64 v[32:33], v[36:37], v[40:41]
	v_mul_f64 v[40:41], v[34:35], v[40:41]
	s_waitcnt vmcnt(0)
	v_mul_f64 v[50:51], v[48:49], v[44:45]
	v_mul_f64 v[44:45], v[46:47], v[44:45]
	v_fma_f64 v[32:33], v[34:35], v[38:39], v[32:33]
	v_fma_f64 v[34:35], v[36:37], v[38:39], -v[40:41]
	v_fma_f64 v[36:37], v[46:47], v[42:43], v[50:51]
	v_fma_f64 v[38:39], v[48:49], v[42:43], -v[44:45]
	ds_write_b128 v189, v[32:35] offset:5632
	ds_write_b128 v189, v[36:39] offset:11968
.LBB0_3:
	s_or_b64 exec, exec, s[18:19]
	s_waitcnt vmcnt(0) lgkmcnt(0)
	s_barrier
	ds_read_b128 v[64:67], v189
	ds_read_b128 v[32:35], v189 offset:1408
	ds_read_b128 v[68:71], v189 offset:6336
	;; [unrolled: 1-line block ×7, first 2 shown]
                                        ; implicit-def: $vgpr48_vgpr49
                                        ; implicit-def: $vgpr52_vgpr53
	s_and_saveexec_b64 s[14:15], s[0:1]
	s_cbranch_execz .LBB0_5
; %bb.4:
	ds_read_b128 v[48:51], v189 offset:5632
	ds_read_b128 v[52:55], v189 offset:11968
.LBB0_5:
	s_or_b64 exec, exec, s[14:15]
	s_waitcnt lgkmcnt(5)
	v_add_f64 v[68:69], v[64:65], -v[68:69]
	v_add_f64 v[70:71], v[66:67], -v[70:71]
	s_waitcnt lgkmcnt(4)
	v_add_f64 v[60:61], v[32:33], -v[60:61]
	v_add_f64 v[62:63], v[34:35], -v[62:63]
	;; [unrolled: 3-line block ×4, first 2 shown]
	v_add_f64 v[40:41], v[48:49], -v[52:53]
	v_add_f64 v[42:43], v[50:51], -v[54:55]
	v_fma_f64 v[64:65], v[64:65], 2.0, -v[68:69]
	v_fma_f64 v[66:67], v[66:67], 2.0, -v[70:71]
	;; [unrolled: 1-line block ×10, first 2 shown]
	s_load_dwordx2 s[14:15], s[4:5], 0x8
	s_movk_i32 s4, 0x58
	v_add_co_u32_e32 v81, vcc, s4, v156
	s_movk_i32 s4, 0xb0
	v_lshl_add_u32 v0, v156, 5, v190
	v_add_co_u32_e32 v80, vcc, s4, v156
	v_lshlrev_b32_e32 v82, 1, v156
	s_waitcnt lgkmcnt(0)
	s_barrier
	ds_write_b128 v0, v[64:67]
	ds_write_b128 v0, v[68:71] offset:16
	v_lshl_add_u32 v0, v81, 5, v190
	s_movk_i32 s4, 0x160
	ds_write_b128 v0, v[32:35]
	buffer_store_dword v0, off, s[48:51], 0 offset:96 ; 4-byte Folded Spill
	ds_write_b128 v0, v[60:63] offset:16
	v_lshl_add_u32 v0, v80, 5, v190
	v_add_u32_e32 v85, 0x210, v82
	v_add_co_u32_e32 v76, vcc, s4, v156
	ds_write_b128 v0, v[52:55]
	buffer_store_dword v0, off, s[48:51], 0 offset:100 ; 4-byte Folded Spill
	ds_write_b128 v0, v[56:59] offset:16
	v_lshl_add_u32 v0, v85, 4, v190
	v_lshlrev_b32_e32 v83, 1, v81
	v_lshlrev_b32_e32 v84, 1, v80
	ds_write_b128 v0, v[44:47]
	buffer_store_dword v0, off, s[48:51], 0 offset:104 ; 4-byte Folded Spill
	ds_write_b128 v0, v[72:75] offset:16
	v_lshl_add_u32 v0, v76, 5, v190
	buffer_store_dword v0, off, s[48:51], 0 offset:180 ; 4-byte Folded Spill
	s_and_saveexec_b64 s[4:5], s[0:1]
	s_cbranch_execz .LBB0_7
; %bb.6:
	v_lshl_add_u32 v0, v76, 5, v190
	ds_write_b128 v0, v[36:39]
	ds_write_b128 v0, v[40:43] offset:16
.LBB0_7:
	s_or_b64 exec, exec, s[4:5]
	s_waitcnt vmcnt(0) lgkmcnt(0)
	s_barrier
	ds_read_b128 v[48:51], v189
	ds_read_b128 v[52:55], v189 offset:1408
	ds_read_b128 v[64:67], v189 offset:6336
	;; [unrolled: 1-line block ×7, first 2 shown]
	s_and_saveexec_b64 s[4:5], s[0:1]
	s_cbranch_execz .LBB0_9
; %bb.8:
	ds_read_b128 v[36:39], v189 offset:5632
	ds_read_b128 v[40:43], v189 offset:11968
.LBB0_9:
	s_or_b64 exec, exec, s[4:5]
	v_and_b32_e32 v206, 1, v156
	v_lshlrev_b32_e32 v0, 4, v206
	global_load_dwordx4 v[32:35], v0, s[14:15]
	s_movk_i32 s4, 0xfc
	s_movk_i32 s5, 0x1fc
	s_movk_i32 s12, 0x3fc
	v_and_or_b32 v0, v82, s4, v206
	v_and_or_b32 v1, v83, s5, v206
	;; [unrolled: 1-line block ×4, first 2 shown]
	v_lshl_add_u32 v5, v0, 4, v190
	v_lshl_add_u32 v4, v1, 4, v190
	;; [unrolled: 1-line block ×4, first 2 shown]
	v_lshlrev_b32_e32 v196, 1, v76
	s_waitcnt vmcnt(0) lgkmcnt(0)
	s_barrier
	buffer_store_dword v5, off, s[48:51], 0 offset:120 ; 4-byte Folded Spill
	v_mul_f64 v[77:78], v[66:67], v[34:35]
	v_mul_f64 v[86:87], v[64:65], v[34:35]
	;; [unrolled: 1-line block ×10, first 2 shown]
	v_fma_f64 v[64:65], v[64:65], v[32:33], -v[77:78]
	v_fma_f64 v[66:67], v[66:67], v[32:33], v[86:87]
	v_fma_f64 v[44:45], v[44:45], v[32:33], -v[88:89]
	v_fma_f64 v[46:47], v[46:47], v[32:33], v[90:91]
	;; [unrolled: 2-line block ×5, first 2 shown]
	v_add_f64 v[64:65], v[48:49], -v[64:65]
	v_add_f64 v[66:67], v[50:51], -v[66:67]
	;; [unrolled: 1-line block ×10, first 2 shown]
	v_fma_f64 v[48:49], v[48:49], 2.0, -v[64:65]
	v_fma_f64 v[50:51], v[50:51], 2.0, -v[66:67]
	;; [unrolled: 1-line block ×10, first 2 shown]
	ds_write_b128 v5, v[64:67] offset:32
	ds_write_b128 v5, v[48:51]
	ds_write_b128 v4, v[52:55]
	buffer_store_dword v4, off, s[48:51], 0 offset:116 ; 4-byte Folded Spill
	ds_write_b128 v4, v[68:71] offset:32
	ds_write_b128 v1, v[56:59]
	buffer_store_dword v1, off, s[48:51], 0 offset:112 ; 4-byte Folded Spill
	ds_write_b128 v1, v[72:75] offset:32
	;; [unrolled: 3-line block ×3, first 2 shown]
	s_and_saveexec_b64 s[4:5], s[0:1]
	s_cbranch_execz .LBB0_11
; %bb.10:
	v_and_or_b32 v0, v196, s12, v206
	v_lshl_add_u32 v0, v0, 4, v190
	ds_write_b128 v0, v[40:43]
	ds_write_b128 v0, v[44:47] offset:32
.LBB0_11:
	s_or_b64 exec, exec, s[4:5]
	s_waitcnt vmcnt(0) lgkmcnt(0)
	s_barrier
	ds_read_b128 v[48:51], v189
	ds_read_b128 v[52:55], v189 offset:1408
	ds_read_b128 v[68:71], v189 offset:6336
	;; [unrolled: 1-line block ×7, first 2 shown]
	s_and_saveexec_b64 s[4:5], s[0:1]
	s_cbranch_execz .LBB0_13
; %bb.12:
	ds_read_b128 v[40:43], v189 offset:5632
	ds_read_b128 v[44:47], v189 offset:11968
.LBB0_13:
	s_or_b64 exec, exec, s[4:5]
	v_and_b32_e32 v3, 3, v156
	v_lshlrev_b32_e32 v0, 4, v3
	global_load_dwordx4 v[36:39], v0, s[14:15] offset:32
	s_movk_i32 s4, 0xf8
	s_movk_i32 s5, 0x1f8
	;; [unrolled: 1-line block ×3, first 2 shown]
	v_and_or_b32 v0, v82, s4, v3
	v_and_or_b32 v1, v83, s5, v3
	;; [unrolled: 1-line block ×4, first 2 shown]
	v_lshl_add_u32 v5, v0, 4, v190
	v_lshl_add_u32 v4, v1, 4, v190
	;; [unrolled: 1-line block ×4, first 2 shown]
	s_waitcnt vmcnt(0) lgkmcnt(0)
	s_barrier
	buffer_store_dword v5, off, s[48:51], 0 offset:136 ; 4-byte Folded Spill
	v_mul_f64 v[82:83], v[70:71], v[38:39]
	v_mul_f64 v[84:85], v[68:69], v[38:39]
	;; [unrolled: 1-line block ×10, first 2 shown]
	v_fma_f64 v[68:69], v[68:69], v[36:37], -v[82:83]
	v_fma_f64 v[70:71], v[70:71], v[36:37], v[84:85]
	v_fma_f64 v[64:65], v[64:65], v[36:37], -v[86:87]
	v_fma_f64 v[66:67], v[66:67], v[36:37], v[88:89]
	;; [unrolled: 2-line block ×5, first 2 shown]
	v_add_f64 v[44:45], v[48:49], -v[68:69]
	v_add_f64 v[46:47], v[50:51], -v[70:71]
	;; [unrolled: 1-line block ×9, first 2 shown]
	v_fma_f64 v[48:49], v[48:49], 2.0, -v[44:45]
	v_fma_f64 v[50:51], v[50:51], 2.0, -v[46:47]
	v_add_f64 v[114:115], v[42:43], -v[84:85]
	v_fma_f64 v[52:53], v[52:53], 2.0, -v[64:65]
	v_fma_f64 v[54:55], v[54:55], 2.0, -v[66:67]
	;; [unrolled: 1-line block ×6, first 2 shown]
	ds_write_b128 v5, v[44:47] offset:64
	ds_write_b128 v5, v[48:51]
	ds_write_b128 v4, v[52:55]
	buffer_store_dword v4, off, s[48:51], 0 offset:132 ; 4-byte Folded Spill
	ds_write_b128 v4, v[64:67] offset:64
	ds_write_b128 v1, v[56:59]
	buffer_store_dword v1, off, s[48:51], 0 offset:128 ; 4-byte Folded Spill
	ds_write_b128 v1, v[68:71] offset:64
	;; [unrolled: 3-line block ×3, first 2 shown]
	s_and_saveexec_b64 s[4:5], s[0:1]
	s_cbranch_execz .LBB0_15
; %bb.14:
	v_fma_f64 v[42:43], v[42:43], 2.0, -v[114:115]
	v_fma_f64 v[40:41], v[40:41], 2.0, -v[112:113]
	v_and_b32_e32 v0, 3, v156
	v_and_or_b32 v0, v196, s12, v0
	v_lshl_add_u32 v0, v0, 4, v190
	ds_write_b128 v0, v[40:43]
	ds_write_b128 v0, v[112:115] offset:64
.LBB0_15:
	s_or_b64 exec, exec, s[4:5]
	v_and_b32_e32 v0, 7, v156
	v_lshlrev_b32_e32 v1, 5, v0
	s_waitcnt vmcnt(0) lgkmcnt(0)
	s_barrier
	global_load_dwordx4 v[44:47], v1, s[14:15] offset:96
	global_load_dwordx4 v[40:43], v1, s[14:15] offset:112
	ds_read_b128 v[48:51], v189
	ds_read_b128 v[52:55], v189 offset:1408
	ds_read_b128 v[56:59], v189 offset:8448
	;; [unrolled: 1-line block ×8, first 2 shown]
	s_mov_b32 s4, 0xe8584caa
	s_mov_b32 s5, 0x3febb67a
	;; [unrolled: 1-line block ×4, first 2 shown]
	v_lshrrev_b32_e32 v1, 3, v156
	v_lshrrev_b32_e32 v2, 3, v81
	;; [unrolled: 1-line block ×3, first 2 shown]
	s_movk_i32 s12, 0xab
	v_mul_u32_u24_e32 v1, 24, v1
	v_mul_u32_u24_e32 v2, 24, v2
	;; [unrolled: 1-line block ×3, first 2 shown]
	v_mul_lo_u16_sdwa v5, v156, s12 dst_sel:DWORD dst_unused:UNUSED_PAD src0_sel:BYTE_0 src1_sel:DWORD
	v_or_b32_e32 v1, v1, v0
	v_or_b32_e32 v2, v2, v0
	v_or_b32_e32 v0, v3, v0
	v_lshrrev_b16_e32 v3, 12, v5
	v_lshl_add_u32 v5, v2, 4, v190
	v_lshl_add_u32 v2, v0, 4, v190
	v_mul_lo_u16_e32 v0, 24, v3
	v_mov_b32_e32 v4, 5
	v_sub_u16_e32 v0, v156, v0
	v_mul_lo_u16_sdwa v6, v81, s12 dst_sel:DWORD dst_unused:UNUSED_PAD src0_sel:BYTE_0 src1_sel:DWORD
	v_lshl_add_u32 v7, v1, 4, v190
	v_lshlrev_b32_sdwa v1, v4, v0 dst_sel:DWORD dst_unused:UNUSED_PAD src0_sel:DWORD src1_sel:BYTE_0
	s_waitcnt vmcnt(0) lgkmcnt(0)
	s_barrier
	s_mov_b32 s12, 0xaaab
	v_mul_u32_u24_e32 v3, 0x48, v3
	v_add_u32_sdwa v0, v3, v0 dst_sel:DWORD dst_unused:UNUSED_PAD src0_sel:DWORD src1_sel:BYTE_0
	v_lshl_add_u32 v3, v0, 4, v190
	v_mul_f64 v[86:87], v[66:67], v[46:47]
	v_mul_f64 v[88:89], v[64:65], v[46:47]
	;; [unrolled: 1-line block ×12, first 2 shown]
	v_fma_f64 v[64:65], v[64:65], v[44:45], -v[86:87]
	v_fma_f64 v[66:67], v[66:67], v[44:45], v[88:89]
	v_fma_f64 v[56:57], v[56:57], v[40:41], -v[90:91]
	v_fma_f64 v[58:59], v[58:59], v[40:41], v[92:93]
	;; [unrolled: 2-line block ×6, first 2 shown]
	v_add_f64 v[86:87], v[48:49], v[64:65]
	v_add_f64 v[88:89], v[64:65], v[56:57]
	v_add_f64 v[90:91], v[66:67], -v[58:59]
	v_add_f64 v[92:93], v[50:51], v[66:67]
	v_add_f64 v[66:67], v[66:67], v[58:59]
	v_add_f64 v[94:95], v[64:65], -v[56:57]
	;; [unrolled: 3-line block ×6, first 2 shown]
	v_add_f64 v[56:57], v[86:87], v[56:57]
	v_fma_f64 v[76:77], v[88:89], -0.5, v[48:49]
	v_fma_f64 v[66:67], v[66:67], -0.5, v[50:51]
	;; [unrolled: 1-line block ×4, first 2 shown]
	v_add_f64 v[52:53], v[72:73], v[82:83]
	v_fma_f64 v[82:83], v[104:105], -0.5, v[68:69]
	v_add_f64 v[54:55], v[108:109], v[84:85]
	v_fma_f64 v[84:85], v[78:79], -0.5, v[70:71]
	v_add_f64 v[58:59], v[92:93], v[58:59]
	v_add_f64 v[48:49], v[64:65], v[60:61]
	;; [unrolled: 1-line block ×3, first 2 shown]
	v_fma_f64 v[60:61], v[90:91], s[4:5], v[76:77]
	v_fma_f64 v[64:65], v[90:91], s[16:17], v[76:77]
	;; [unrolled: 1-line block ×12, first 2 shown]
	ds_write_b128 v7, v[56:59]
	ds_write_b128 v7, v[60:63] offset:128
	buffer_store_dword v7, off, s[48:51], 0 offset:160 ; 4-byte Folded Spill
	ds_write_b128 v7, v[64:67] offset:256
	ds_write_b128 v5, v[48:51]
	ds_write_b128 v5, v[68:71] offset:128
	buffer_store_dword v5, off, s[48:51], 0 offset:152 ; 4-byte Folded Spill
	ds_write_b128 v5, v[72:75] offset:256
	;; [unrolled: 4-line block ×3, first 2 shown]
	s_waitcnt vmcnt(0) lgkmcnt(0)
	s_barrier
	global_load_dwordx4 v[60:63], v1, s[14:15] offset:368
	global_load_dwordx4 v[68:71], v1, s[14:15] offset:352
	v_lshrrev_b16_e32 v1, 12, v6
	v_mul_lo_u16_e32 v2, 24, v1
	v_sub_u16_e32 v2, v81, v2
	v_lshlrev_b32_sdwa v4, v4, v2 dst_sel:DWORD dst_unused:UNUSED_PAD src0_sel:DWORD src1_sel:BYTE_0
	global_load_dwordx4 v[48:51], v4, s[14:15] offset:368
	global_load_dwordx4 v[64:67], v4, s[14:15] offset:352
	v_mul_u32_u24_sdwa v4, v80, s12 dst_sel:DWORD dst_unused:UNUSED_PAD src0_sel:WORD_0 src1_sel:DWORD
	v_lshrrev_b32_e32 v4, 20, v4
	v_mul_lo_u16_e32 v5, 24, v4
	v_sub_u16_e32 v5, v80, v5
	v_lshlrev_b16_e32 v6, 5, v5
	v_mov_b32_e32 v7, s15
	v_add_co_u32_e32 v52, vcc, s14, v6
	v_addc_co_u32_e32 v53, vcc, 0, v7, vcc
	global_load_dwordx4 v[76:79], v[52:53], off offset:352
	global_load_dwordx4 v[56:59], v[52:53], off offset:368
	ds_read_b128 v[52:55], v189
	ds_read_b128 v[72:75], v189 offset:1408
	ds_read_b128 v[80:83], v189 offset:8448
	;; [unrolled: 1-line block ×8, first 2 shown]
	s_movk_i32 s12, 0x48
	v_mul_u32_u24_e32 v1, 0x48, v1
	v_add_u32_sdwa v1, v1, v2 dst_sel:DWORD dst_unused:UNUSED_PAD src0_sel:DWORD src1_sel:BYTE_0
	v_mad_legacy_u16 v2, v4, s12, v5
	v_lshl_add_u32 v1, v1, 4, v190
	v_lshl_add_u32 v0, v2, 4, v190
	s_waitcnt vmcnt(0) lgkmcnt(0)
	s_barrier
	v_mul_f64 v[116:117], v[82:83], v[62:63]
	v_mul_f64 v[108:109], v[90:91], v[70:71]
	;; [unrolled: 1-line block ×8, first 2 shown]
	v_fma_f64 v[88:89], v[88:89], v[68:69], -v[108:109]
	v_fma_f64 v[90:91], v[90:91], v[68:69], v[110:111]
	v_fma_f64 v[80:81], v[80:81], v[60:61], -v[116:117]
	v_fma_f64 v[82:83], v[82:83], v[60:61], v[118:119]
	v_fma_f64 v[84:85], v[84:85], v[48:49], -v[124:125]
	v_fma_f64 v[92:93], v[92:93], v[64:65], -v[120:121]
	v_fma_f64 v[94:95], v[94:95], v[64:65], v[122:123]
	v_mul_f64 v[128:129], v[102:103], v[78:79]
	v_mul_f64 v[130:131], v[100:101], v[78:79]
	;; [unrolled: 1-line block ×4, first 2 shown]
	v_fma_f64 v[86:87], v[86:87], v[48:49], v[126:127]
	v_add_f64 v[108:109], v[52:53], v[88:89]
	v_add_f64 v[110:111], v[88:89], v[80:81]
	v_add_f64 v[120:121], v[90:91], -v[82:83]
	v_fma_f64 v[100:101], v[100:101], v[76:77], -v[128:129]
	v_fma_f64 v[102:103], v[102:103], v[76:77], v[130:131]
	v_fma_f64 v[104:105], v[104:105], v[56:57], -v[132:133]
	v_fma_f64 v[106:107], v[106:107], v[56:57], v[134:135]
	v_add_f64 v[118:119], v[54:55], v[90:91]
	v_add_f64 v[90:91], v[90:91], v[82:83]
	;; [unrolled: 1-line block ×4, first 2 shown]
	v_add_f64 v[122:123], v[88:89], -v[80:81]
	v_add_f64 v[88:89], v[72:73], v[92:93]
	v_add_f64 v[136:137], v[100:101], v[104:105]
	;; [unrolled: 1-line block ×3, first 2 shown]
	v_add_f64 v[126:127], v[94:95], -v[86:87]
	v_add_f64 v[128:129], v[74:75], v[94:95]
	v_add_f64 v[132:133], v[92:93], -v[84:85]
	v_add_f64 v[134:135], v[96:97], v[100:101]
	;; [unrolled: 2-line block ×4, first 2 shown]
	v_fma_f64 v[52:53], v[110:111], -0.5, v[52:53]
	v_add_f64 v[118:119], v[118:119], v[82:83]
	v_fma_f64 v[54:55], v[90:91], -0.5, v[54:55]
	v_fma_f64 v[72:73], v[124:125], -0.5, v[72:73]
	;; [unrolled: 1-line block ×5, first 2 shown]
	v_add_f64 v[92:93], v[88:89], v[84:85]
	v_add_f64 v[94:95], v[128:129], v[86:87]
	v_add_f64 v[100:101], v[134:135], v[104:105]
	v_add_f64 v[102:103], v[140:141], v[106:107]
	v_fma_f64 v[88:89], v[120:121], s[4:5], v[52:53]
	v_fma_f64 v[96:97], v[120:121], s[16:17], v[52:53]
	;; [unrolled: 1-line block ×12, first 2 shown]
	v_cmp_gt_u16_e64 s[4:5], s12, v156
	ds_write_b128 v3, v[116:119]
	ds_write_b128 v3, v[88:91] offset:384
	buffer_store_dword v3, off, s[48:51], 0 offset:156 ; 4-byte Folded Spill
	ds_write_b128 v3, v[96:99] offset:768
	ds_write_b128 v1, v[92:95]
	ds_write_b128 v1, v[104:107] offset:384
	buffer_store_dword v1, off, s[48:51], 0 offset:148 ; 4-byte Folded Spill
	ds_write_b128 v1, v[108:111] offset:768
	;; [unrolled: 4-line block ×3, first 2 shown]
	s_waitcnt vmcnt(0) lgkmcnt(0)
	s_barrier
	s_waitcnt lgkmcnt(0)
                                        ; implicit-def: $vgpr120_vgpr121
	s_and_saveexec_b64 s[16:17], s[4:5]
	s_cbranch_execz .LBB0_17
; %bb.16:
	ds_read_b128 v[116:119], v189
	ds_read_b128 v[88:91], v189 offset:1152
	ds_read_b128 v[96:99], v189 offset:2304
	;; [unrolled: 1-line block ×10, first 2 shown]
.LBB0_17:
	s_or_b64 exec, exec, s[16:17]
	v_add_u32_e32 v0, 0xffffffb8, v156
	v_cndmask_b32_e64 v0, v0, v156, s[4:5]
	v_mul_hi_i32_i24_e32 v1, 0xa0, v0
	v_mul_i32_i24_e32 v0, 0xa0, v0
	v_add_co_u32_e32 v132, vcc, s14, v0
	v_mov_b32_e32 v0, s15
	v_addc_co_u32_e32 v133, vcc, v0, v1, vcc
	global_load_dwordx4 v[84:87], v[132:133], off offset:1168
	global_load_dwordx4 v[80:83], v[132:133], off offset:1152
	;; [unrolled: 1-line block ×4, first 2 shown]
	s_mov_b32 s18, 0xf8bb580b
	s_mov_b32 s19, 0xbfe14ced
	s_mov_b32 s14, 0x8764f0ba
	s_mov_b32 s20, 0x8eee2c13
	s_mov_b32 s15, 0x3feaeb8c
	s_mov_b32 s21, 0xbfed1bb4
	s_mov_b32 s16, 0xd9c712b6
	s_mov_b32 s17, 0x3fda9628
	s_mov_b32 s30, 0xbb3a28a1
	s_mov_b32 s31, 0xbfe82f19
	s_mov_b32 s24, 0x43842ef
	s_mov_b32 s26, 0x7f775887
	s_mov_b32 s25, 0xbfefac9e
	s_mov_b32 s27, 0xbfe4f49e
	s_mov_b32 s22, 0x640f44db
	s_mov_b32 s34, 0xfd768dbf
	s_mov_b32 s23, 0xbfc2375f
	s_mov_b32 s35, 0x3fd207e7
	s_mov_b32 s28, 0x9bcd5057
	s_mov_b32 s29, 0xbfeeb42a
	s_mov_b32 s37, 0x3fed1bb4
	s_mov_b32 s36, s20
	s_mov_b32 s41, 0x3fefac9e
	s_mov_b32 s40, s24
	s_mov_b32 s43, 0xbfd207e7
	s_mov_b32 s42, s34
	s_mov_b32 s45, 0x3fe14ced
	s_mov_b32 s44, s18
	s_waitcnt vmcnt(0) lgkmcnt(9)
	v_mul_f64 v[134:135], v[90:91], v[74:75]
	v_fma_f64 v[12:13], v[88:89], v[72:73], -v[134:135]
	v_mul_f64 v[88:89], v[88:89], v[74:75]
	v_fma_f64 v[14:15], v[90:91], v[72:73], v[88:89]
	s_waitcnt lgkmcnt(8)
	v_mul_f64 v[88:89], v[98:99], v[54:55]
	v_fma_f64 v[8:9], v[96:97], v[52:53], -v[88:89]
	v_mul_f64 v[88:89], v[96:97], v[54:55]
	v_fma_f64 v[10:11], v[98:99], v[52:53], v[88:89]
	s_waitcnt lgkmcnt(7)
	;; [unrolled: 5-line block ×3, first 2 shown]
	v_mul_f64 v[88:89], v[106:107], v[86:87]
	v_fma_f64 v[0:1], v[104:105], v[84:85], -v[88:89]
	v_mul_f64 v[88:89], v[104:105], v[86:87]
	v_fma_f64 v[2:3], v[106:107], v[84:85], v[88:89]
	global_load_dwordx4 v[88:91], v[132:133], off offset:1232
	global_load_dwordx4 v[92:95], v[132:133], off offset:1216
	;; [unrolled: 1-line block ×4, first 2 shown]
	s_waitcnt vmcnt(0) lgkmcnt(5)
	v_mul_f64 v[134:135], v[110:111], v[106:107]
	v_fma_f64 v[28:29], v[108:109], v[104:105], -v[134:135]
	v_mul_f64 v[108:109], v[108:109], v[106:107]
	v_fma_f64 v[30:31], v[110:111], v[104:105], v[108:109]
	s_waitcnt lgkmcnt(4)
	v_mul_f64 v[108:109], v[102:103], v[98:99]
	v_fma_f64 v[24:25], v[100:101], v[96:97], -v[108:109]
	v_mul_f64 v[100:101], v[100:101], v[98:99]
	v_add_f64 v[175:176], v[28:29], v[24:25]
	v_fma_f64 v[26:27], v[102:103], v[96:97], v[100:101]
	s_waitcnt lgkmcnt(3)
	v_mul_f64 v[100:101], v[126:127], v[94:95]
	v_add_f64 v[177:178], v[28:29], -v[24:25]
	v_add_f64 v[179:180], v[30:31], -v[26:27]
	v_fma_f64 v[215:216], v[124:125], v[92:93], -v[100:101]
	v_mul_f64 v[100:101], v[124:125], v[94:95]
	v_add_f64 v[183:184], v[30:31], v[26:27]
	v_mul_f64 v[251:252], v[177:178], s[42:43]
	v_mul_f64 v[169:170], v[177:178], s[44:45]
	;; [unrolled: 1-line block ×4, first 2 shown]
	v_add_f64 v[229:230], v[0:1], v[215:216]
	v_fma_f64 v[22:23], v[126:127], v[92:93], v[100:101]
	s_waitcnt lgkmcnt(2)
	v_mul_f64 v[100:101], v[130:131], v[90:91]
	v_add_f64 v[237:238], v[0:1], -v[215:216]
	v_mul_f64 v[253:254], v[179:180], s[44:45]
	v_mul_f64 v[171:172], v[179:180], s[30:31]
	v_add_f64 v[239:240], v[2:3], -v[22:23]
	v_fma_f64 v[16:17], v[128:129], v[88:89], -v[100:101]
	v_mul_f64 v[100:101], v[128:129], v[90:91]
	v_add_f64 v[231:232], v[2:3], v[22:23]
	v_mul_f64 v[235:236], v[237:238], s[30:31]
	v_mul_f64 v[243:244], v[237:238], s[40:41]
	;; [unrolled: 1-line block ×4, first 2 shown]
	v_add_f64 v[221:222], v[4:5], v[16:17]
	v_fma_f64 v[18:19], v[130:131], v[88:89], v[100:101]
	global_load_dwordx4 v[100:103], v[132:133], off offset:1264
	global_load_dwordx4 v[108:111], v[132:133], off offset:1248
	v_add_f64 v[223:224], v[4:5], -v[16:17]
	v_mul_f64 v[241:242], v[239:240], s[40:41]
	v_mul_f64 v[245:246], v[239:240], s[18:19]
	v_add_f64 v[225:226], v[6:7], -v[18:19]
	v_add_f64 v[227:228], v[6:7], v[18:19]
	v_mul_f64 v[159:160], v[223:224], s[24:25]
	v_mul_f64 v[167:168], v[223:224], s[34:35]
	;; [unrolled: 1-line block ×6, first 2 shown]
	s_waitcnt vmcnt(0) lgkmcnt(1)
	v_mul_f64 v[124:125], v[114:115], v[110:111]
	v_fma_f64 v[134:135], v[112:113], v[108:109], -v[124:125]
	v_mul_f64 v[112:113], v[112:113], v[110:111]
	v_add_f64 v[207:208], v[8:9], v[134:135]
	v_fma_f64 v[136:137], v[114:115], v[108:109], v[112:113]
	s_waitcnt lgkmcnt(0)
	v_mul_f64 v[112:113], v[122:123], v[102:103]
	v_add_f64 v[209:210], v[8:9], -v[134:135]
	v_add_f64 v[211:212], v[10:11], -v[136:137]
	v_fma_f64 v[128:129], v[120:121], v[100:101], -v[112:113]
	v_mul_f64 v[112:113], v[120:121], v[102:103]
	v_add_f64 v[213:214], v[10:11], v[136:137]
	v_mul_f64 v[148:149], v[209:210], s[20:21]
	v_mul_f64 v[154:155], v[209:210], s[30:31]
	;; [unrolled: 1-line block ×4, first 2 shown]
	v_add_f64 v[181:182], v[12:13], v[128:129]
	v_fma_f64 v[130:131], v[122:123], v[100:101], v[112:113]
	v_add_f64 v[185:186], v[12:13], -v[128:129]
	v_mul_f64 v[152:153], v[211:212], s[30:31]
	v_mul_f64 v[165:166], v[211:212], s[34:35]
	v_fma_f64 v[132:133], v[207:208], s[16:17], v[146:147]
	v_add_f64 v[187:188], v[14:15], -v[130:131]
	v_add_f64 v[191:192], v[14:15], v[130:131]
	v_mul_f64 v[140:141], v[185:186], s[18:19]
	v_mul_f64 v[144:145], v[185:186], s[20:21]
	;; [unrolled: 1-line block ×5, first 2 shown]
	v_fma_f64 v[114:115], v[191:192], s[14:15], -v[140:141]
	v_fma_f64 v[122:123], v[191:192], s[16:17], -v[144:145]
	v_mul_f64 v[150:151], v[187:188], s[24:25]
	v_fma_f64 v[126:127], v[191:192], s[22:23], -v[163:164]
	v_fma_f64 v[112:113], v[181:182], s[14:15], v[138:139]
	v_fma_f64 v[120:121], v[181:182], s[16:17], v[142:143]
	v_add_f64 v[114:115], v[118:119], v[114:115]
	v_add_f64 v[122:123], v[118:119], v[122:123]
	v_fma_f64 v[124:125], v[181:182], s[22:23], v[150:151]
	v_add_f64 v[126:127], v[118:119], v[126:127]
	v_add_f64 v[112:113], v[116:117], v[112:113]
	;; [unrolled: 1-line block ×5, first 2 shown]
	v_fma_f64 v[132:133], v[213:214], s[16:17], -v[148:149]
	v_add_f64 v[114:115], v[132:133], v[114:115]
	v_fma_f64 v[132:133], v[207:208], s[26:27], v[152:153]
	v_add_f64 v[120:121], v[132:133], v[120:121]
	v_fma_f64 v[132:133], v[213:214], s[26:27], -v[154:155]
	v_add_f64 v[122:123], v[132:133], v[122:123]
	v_fma_f64 v[132:133], v[207:208], s[28:29], v[165:166]
	v_add_f64 v[124:125], v[132:133], v[124:125]
	;; [unrolled: 4-line block ×11, first 2 shown]
	v_fma_f64 v[132:133], v[183:184], s[26:27], -v[173:174]
	v_add_f64 v[126:127], v[132:133], v[126:127]
	s_and_saveexec_b64 s[38:39], s[4:5]
	s_cbranch_execz .LBB0_19
; %bb.18:
	v_mul_f64 v[132:133], v[181:182], s[14:15]
	v_mul_f64 v[20:21], v[211:212], s[44:45]
	s_mov_b32 s47, 0x3fe82f19
	s_mov_b32 s46, s30
	v_mov_b32_e32 v162, v25
	v_mov_b32_e32 v161, v24
	v_mul_f64 v[197:198], v[225:226], s[30:31]
	buffer_store_dword v132, off, s[48:51], 0 offset:240 ; 4-byte Folded Spill
	s_nop 0
	buffer_store_dword v133, off, s[48:51], 0 offset:244 ; 4-byte Folded Spill
	v_mul_f64 v[132:133], v[191:192], s[14:15]
	buffer_store_dword v132, off, s[48:51], 0 offset:304 ; 4-byte Folded Spill
	s_nop 0
	buffer_store_dword v133, off, s[48:51], 0 offset:308 ; 4-byte Folded Spill
	;; [unrolled: 4-line block ×4, first 2 shown]
	buffer_store_dword v150, off, s[48:51], 0 offset:424 ; 4-byte Folded Spill
	s_nop 0
	buffer_store_dword v151, off, s[48:51], 0 offset:428 ; 4-byte Folded Spill
	buffer_store_dword v152, off, s[48:51], 0 offset:280 ; 4-byte Folded Spill
	s_nop 0
	buffer_store_dword v153, off, s[48:51], 0 offset:284 ; 4-byte Folded Spill
	v_mul_f64 v[132:133], v[207:208], s[16:17]
	buffer_store_dword v146, off, s[48:51], 0 offset:216 ; 4-byte Folded Spill
	s_nop 0
	buffer_store_dword v147, off, s[48:51], 0 offset:220 ; 4-byte Folded Spill
	v_mov_b32_e32 v152, v193
	v_mov_b32_e32 v153, v194
	;; [unrolled: 1-line block ×4, first 2 shown]
	v_mul_f64 v[146:147], v[191:192], s[22:23]
	v_mul_f64 v[150:151], v[181:182], s[22:23]
	buffer_store_dword v132, off, s[48:51], 0 offset:232 ; 4-byte Folded Spill
	s_nop 0
	buffer_store_dword v133, off, s[48:51], 0 offset:236 ; 4-byte Folded Spill
	v_mul_f64 v[132:133], v[213:214], s[16:17]
	buffer_store_dword v132, off, s[48:51], 0 offset:288 ; 4-byte Folded Spill
	s_nop 0
	buffer_store_dword v133, off, s[48:51], 0 offset:292 ; 4-byte Folded Spill
	;; [unrolled: 4-line block ×5, first 2 shown]
	buffer_store_dword v148, off, s[48:51], 0 offset:344 ; 4-byte Folded Spill
	s_nop 0
	buffer_store_dword v149, off, s[48:51], 0 offset:348 ; 4-byte Folded Spill
	v_mul_f64 v[132:133], v[221:222], s[22:23]
	v_mul_f64 v[148:149], v[213:214], s[28:29]
	buffer_store_dword v132, off, s[48:51], 0 offset:208 ; 4-byte Folded Spill
	s_nop 0
	buffer_store_dword v133, off, s[48:51], 0 offset:212 ; 4-byte Folded Spill
	v_mul_f64 v[132:133], v[227:228], s[22:23]
	buffer_store_dword v132, off, s[48:51], 0 offset:264 ; 4-byte Folded Spill
	s_nop 0
	buffer_store_dword v133, off, s[48:51], 0 offset:268 ; 4-byte Folded Spill
	;; [unrolled: 4-line block ×5, first 2 shown]
	buffer_store_dword v159, off, s[48:51], 0 offset:312 ; 4-byte Folded Spill
	s_nop 0
	buffer_store_dword v160, off, s[48:51], 0 offset:316 ; 4-byte Folded Spill
	v_mul_f64 v[132:133], v[229:230], s[26:27]
	v_mul_f64 v[159:160], v[227:228], s[16:17]
	buffer_store_dword v132, off, s[48:51], 0 offset:200 ; 4-byte Folded Spill
	s_nop 0
	buffer_store_dword v133, off, s[48:51], 0 offset:204 ; 4-byte Folded Spill
	v_mul_f64 v[132:133], v[231:232], s[26:27]
	buffer_store_dword v132, off, s[48:51], 0 offset:248 ; 4-byte Folded Spill
	s_nop 0
	buffer_store_dword v133, off, s[48:51], 0 offset:252 ; 4-byte Folded Spill
	;; [unrolled: 4-line block ×3, first 2 shown]
	buffer_store_dword v30, off, s[48:51], 0 offset:368 ; 4-byte Folded Spill
	s_nop 0
	buffer_store_dword v31, off, s[48:51], 0 offset:372 ; 4-byte Folded Spill
	buffer_store_dword v2, off, s[48:51], 0 offset:392 ; 4-byte Folded Spill
	s_nop 0
	buffer_store_dword v3, off, s[48:51], 0 offset:396 ; 4-byte Folded Spill
	v_mul_f64 v[2:3], v[231:232], s[22:23]
	v_mov_b32_e32 v30, v140
	v_mov_b32_e32 v31, v141
	;; [unrolled: 1-line block ×4, first 2 shown]
	v_mul_f64 v[14:15], v[187:188], s[42:43]
	v_mul_f64 v[132:133], v[231:232], s[16:17]
	buffer_store_dword v2, off, s[48:51], 0 offset:408 ; 4-byte Folded Spill
	s_nop 0
	buffer_store_dword v3, off, s[48:51], 0 offset:412 ; 4-byte Folded Spill
	buffer_store_dword v142, off, s[48:51], 0 offset:360 ; 4-byte Folded Spill
	s_nop 0
	buffer_store_dword v143, off, s[48:51], 0 offset:364 ; 4-byte Folded Spill
	;; [unrolled: 3-line block ×5, first 2 shown]
	v_mul_f64 v[4:5], v[229:230], s[14:15]
	v_mov_b32_e32 v128, v138
	v_mov_b32_e32 v129, v139
	v_mul_f64 v[138:139], v[227:228], s[26:27]
	v_fma_f64 v[22:23], v[181:182], s[28:29], v[14:15]
	v_fma_f64 v[14:15], v[181:182], s[28:29], -v[14:15]
	v_mov_b32_e32 v2, v8
	v_mov_b32_e32 v3, v9
	buffer_store_dword v4, off, s[48:51], 0 offset:376 ; 4-byte Folded Spill
	s_nop 0
	buffer_store_dword v5, off, s[48:51], 0 offset:380 ; 4-byte Folded Spill
	v_mul_f64 v[4:5], v[175:176], s[28:29]
	v_mov_b32_e32 v8, v28
	v_fma_f64 v[24:25], v[223:224], s[46:47], v[138:139]
	v_mov_b32_e32 v9, v29
	v_fma_f64 v[28:29], v[207:208], s[14:15], v[20:21]
	v_add_f64 v[22:23], v[116:117], v[22:23]
	v_fma_f64 v[20:21], v[207:208], s[14:15], -v[20:21]
	v_add_f64 v[14:15], v[116:117], v[14:15]
	buffer_store_dword v4, off, s[48:51], 0 offset:192 ; 4-byte Folded Spill
	s_nop 0
	buffer_store_dword v5, off, s[48:51], 0 offset:196 ; 4-byte Folded Spill
	v_mul_f64 v[4:5], v[183:184], s[28:29]
	v_fma_f64 v[138:139], v[223:224], s[30:31], v[138:139]
	v_mul_f64 v[142:143], v[175:176], s[26:27]
	v_mov_b32_e32 v158, v7
	v_add_f64 v[22:23], v[28:29], v[22:23]
	v_fma_f64 v[28:29], v[221:222], s[26:27], v[197:198]
	v_add_f64 v[14:15], v[20:21], v[14:15]
	v_mul_f64 v[20:21], v[179:180], s[24:25]
	buffer_store_dword v4, off, s[48:51], 0 offset:224 ; 4-byte Folded Spill
	s_nop 0
	buffer_store_dword v5, off, s[48:51], 0 offset:228 ; 4-byte Folded Spill
	v_mul_f64 v[4:5], v[175:176], s[14:15]
	v_mul_f64 v[179:180], v[179:180], s[36:37]
	v_mov_b32_e32 v157, v6
	v_mul_f64 v[6:7], v[231:232], s[14:15]
	v_add_f64 v[22:23], v[28:29], v[22:23]
	v_fma_f64 v[28:29], v[237:238], s[36:37], v[132:133]
	buffer_store_dword v4, off, s[48:51], 0 offset:328 ; 4-byte Folded Spill
	s_nop 0
	buffer_store_dword v5, off, s[48:51], 0 offset:332 ; 4-byte Folded Spill
	v_mul_f64 v[4:5], v[183:184], s[14:15]
	buffer_store_dword v4, off, s[48:51], 0 offset:456 ; 4-byte Folded Spill
	s_nop 0
	buffer_store_dword v5, off, s[48:51], 0 offset:460 ; 4-byte Folded Spill
	buffer_store_dword v134, off, s[48:51], 0 offset:352 ; 4-byte Folded Spill
	s_nop 0
	buffer_store_dword v135, off, s[48:51], 0 offset:356 ; 4-byte Folded Spill
	v_mul_f64 v[134:135], v[191:192], s[28:29]
	buffer_store_dword v136, off, s[48:51], 0 offset:416 ; 4-byte Folded Spill
	s_nop 0
	buffer_store_dword v137, off, s[48:51], 0 offset:420 ; 4-byte Folded Spill
	buffer_store_dword v16, off, s[48:51], 0 offset:472 ; 4-byte Folded Spill
	s_nop 0
	buffer_store_dword v17, off, s[48:51], 0 offset:476 ; 4-byte Folded Spill
	;; [unrolled: 3-line block ×3, first 2 shown]
	v_mul_f64 v[16:17], v[213:214], s[14:15]
	buffer_store_dword v130, off, s[48:51], 0 offset:488 ; 4-byte Folded Spill
	s_nop 0
	buffer_store_dword v131, off, s[48:51], 0 offset:492 ; 4-byte Folded Spill
	v_mov_b32_e32 v131, v27
	v_mov_b32_e32 v130, v26
	v_fma_f64 v[18:19], v[185:186], s[34:35], v[134:135]
	v_fma_f64 v[26:27], v[185:186], s[42:43], v[134:135]
	v_mov_b32_e32 v5, v1
	v_mul_f64 v[136:137], v[183:184], s[22:23]
	v_fma_f64 v[134:135], v[209:210], s[18:19], v[16:17]
	v_fma_f64 v[16:17], v[209:210], s[44:45], v[16:17]
	v_mov_b32_e32 v4, v0
	v_fma_f64 v[0:1], v[237:238], s[20:21], v[132:133]
	v_add_f64 v[18:19], v[118:119], v[18:19]
	v_add_f64 v[26:27], v[118:119], v[26:27]
	;; [unrolled: 1-line block ×4, first 2 shown]
	v_mul_f64 v[134:135], v[239:240], s[36:37]
	v_add_f64 v[16:17], v[16:17], v[26:27]
	v_fma_f64 v[26:27], v[221:222], s[26:27], -v[197:198]
	v_add_f64 v[18:19], v[24:25], v[18:19]
	v_fma_f64 v[24:25], v[229:230], s[16:17], v[134:135]
	v_add_f64 v[16:17], v[138:139], v[16:17]
	v_fma_f64 v[132:133], v[229:230], s[16:17], -v[134:135]
	v_add_f64 v[14:15], v[26:27], v[14:15]
	v_fma_f64 v[26:27], v[177:178], s[40:41], v[136:137]
	v_add_f64 v[0:1], v[0:1], v[18:19]
	v_fma_f64 v[18:19], v[175:176], s[22:23], v[20:21]
	v_add_f64 v[22:23], v[24:25], v[22:23]
	v_fma_f64 v[24:25], v[177:178], s[24:25], v[136:137]
	v_add_f64 v[16:17], v[28:29], v[16:17]
	v_fma_f64 v[20:21], v[175:176], s[22:23], -v[20:21]
	v_add_f64 v[14:15], v[132:133], v[14:15]
	v_mul_f64 v[28:29], v[183:184], s[26:27]
	v_add_f64 v[134:135], v[26:27], v[0:1]
	v_mul_f64 v[0:1], v[191:192], s[26:27]
	;; [unrolled: 2-line block ×5, first 2 shown]
	v_mul_f64 v[20:21], v[183:184], s[16:17]
	v_fma_f64 v[22:23], v[185:186], s[30:31], v[0:1]
	v_fma_f64 v[0:1], v[185:186], s[46:47], v[0:1]
	v_mul_f64 v[185:186], v[227:228], s[14:15]
	v_mul_f64 v[18:19], v[231:232], s[28:29]
	v_fma_f64 v[183:184], v[181:182], s[26:27], v[16:17]
	v_mul_f64 v[191:192], v[225:226], s[18:19]
	v_fma_f64 v[187:188], v[209:210], s[24:25], v[14:15]
	v_fma_f64 v[14:15], v[209:210], s[40:41], v[14:15]
	v_add_f64 v[22:23], v[118:119], v[22:23]
	v_add_f64 v[0:1], v[118:119], v[0:1]
	v_fma_f64 v[197:198], v[207:208], s[22:23], v[26:27]
	v_fma_f64 v[209:210], v[223:224], s[44:45], v[185:186]
	v_add_f64 v[183:184], v[116:117], v[183:184]
	v_fma_f64 v[185:186], v[223:224], s[18:19], v[185:186]
	v_fma_f64 v[24:25], v[237:238], s[34:35], v[18:19]
	v_fma_f64 v[16:17], v[181:182], s[26:27], -v[16:17]
	v_add_f64 v[14:15], v[14:15], v[22:23]
	v_add_f64 v[0:1], v[187:188], v[0:1]
	v_fma_f64 v[181:182], v[221:222], s[14:15], v[191:192]
	v_fma_f64 v[18:19], v[237:238], s[42:43], v[18:19]
	v_add_f64 v[183:184], v[197:198], v[183:184]
	v_fma_f64 v[26:27], v[207:208], s[22:23], -v[26:27]
	v_mul_f64 v[22:23], v[239:240], s[42:43]
	v_add_f64 v[16:17], v[116:117], v[16:17]
	v_add_f64 v[14:15], v[185:186], v[14:15]
	;; [unrolled: 1-line block ×3, first 2 shown]
	v_fma_f64 v[187:188], v[221:222], s[14:15], -v[191:192]
	v_add_f64 v[28:29], v[173:174], v[28:29]
	v_add_f64 v[181:182], v[181:182], v[183:184]
	v_fma_f64 v[183:184], v[177:178], s[36:37], v[20:21]
	v_fma_f64 v[185:186], v[229:230], s[28:29], v[22:23]
	v_add_f64 v[16:17], v[26:27], v[16:17]
	v_add_f64 v[14:15], v[18:19], v[14:15]
	v_fma_f64 v[18:19], v[177:178], s[20:21], v[20:21]
	v_add_f64 v[0:1], v[24:25], v[0:1]
	v_fma_f64 v[24:25], v[175:176], s[16:17], v[179:180]
	v_fma_f64 v[22:23], v[229:230], s[28:29], -v[22:23]
	v_add_f64 v[20:21], v[163:164], v[146:147]
	v_add_f64 v[26:27], v[185:186], v[181:182]
	;; [unrolled: 1-line block ×5, first 2 shown]
	v_fma_f64 v[148:149], v[175:176], s[16:17], -v[179:180]
	v_add_f64 v[175:176], v[116:117], v[12:13]
	buffer_load_dword v12, off, s[48:51], 0 offset:440 ; 4-byte Folded Reload
	buffer_load_dword v13, off, s[48:51], 0 offset:444 ; 4-byte Folded Reload
	v_add_f64 v[20:21], v[118:119], v[20:21]
	v_add_f64 v[146:147], v[118:119], v[140:141]
	;; [unrolled: 1-line block ×10, first 2 shown]
	s_waitcnt vmcnt(0)
	v_add_f64 v[179:180], v[144:145], v[12:13]
	buffer_load_dword v12, off, s[48:51], 0 offset:424 ; 4-byte Folded Reload
	buffer_load_dword v13, off, s[48:51], 0 offset:428 ; 4-byte Folded Reload
	v_add_f64 v[179:180], v[118:119], v[179:180]
	s_waitcnt vmcnt(0)
	v_add_f64 v[159:160], v[150:151], -v[12:13]
	buffer_load_dword v12, off, s[48:51], 0 offset:448 ; 4-byte Folded Reload
	buffer_load_dword v13, off, s[48:51], 0 offset:452 ; 4-byte Folded Reload
	;; [unrolled: 1-line block ×4, first 2 shown]
	v_add_f64 v[159:160], v[116:117], v[159:160]
	s_waitcnt vmcnt(2)
	v_add_f64 v[20:21], v[154:155], v[12:13]
	s_waitcnt vmcnt(0)
	v_add_f64 v[181:182], v[2:3], -v[165:166]
	buffer_load_dword v2, off, s[48:51], 0 offset:432 ; 4-byte Folded Reload
	buffer_load_dword v3, off, s[48:51], 0 offset:436 ; 4-byte Folded Reload
	v_add_f64 v[12:13], v[142:143], -v[171:172]
	v_add_f64 v[20:21], v[20:21], v[179:180]
	v_add_f64 v[159:160], v[181:182], v[159:160]
	s_waitcnt vmcnt(0)
	v_add_f64 v[22:23], v[167:168], v[2:3]
	buffer_load_dword v2, off, s[48:51], 0 offset:464 ; 4-byte Folded Reload
	buffer_load_dword v3, off, s[48:51], 0 offset:468 ; 4-byte Folded Reload
	v_add_f64 v[20:21], v[22:23], v[20:21]
	s_waitcnt vmcnt(0)
	v_add_f64 v[154:155], v[175:176], v[2:3]
	buffer_load_dword v2, off, s[48:51], 0 offset:384 ; 4-byte Folded Reload
	buffer_load_dword v3, off, s[48:51], 0 offset:388 ; 4-byte Folded Reload
	v_add_f64 v[175:176], v[148:149], v[16:17]
	v_add_f64 v[148:149], v[24:25], v[26:27]
	s_waitcnt vmcnt(0)
	v_add_f64 v[157:158], v[2:3], -v[199:200]
	buffer_load_dword v2, off, s[48:51], 0 offset:408 ; 4-byte Folded Reload
	buffer_load_dword v3, off, s[48:51], 0 offset:412 ; 4-byte Folded Reload
	;; [unrolled: 1-line block ×4, first 2 shown]
	v_add_f64 v[22:23], v[157:158], v[159:160]
	s_waitcnt vmcnt(2)
	v_add_f64 v[2:3], v[243:244], v[2:3]
	s_waitcnt vmcnt(0)
	v_add_f64 v[14:15], v[146:147], v[10:11]
	v_add_f64 v[146:147], v[154:155], v[4:5]
	buffer_load_dword v4, off, s[48:51], 0 offset:376 ; 4-byte Folded Reload
	buffer_load_dword v5, off, s[48:51], 0 offset:380 ; 4-byte Folded Reload
	;; [unrolled: 1-line block ×6, first 2 shown]
	v_add_f64 v[2:3], v[2:3], v[20:21]
	v_add_f64 v[146:147], v[146:147], v[8:9]
	s_waitcnt vmcnt(4)
	v_add_f64 v[4:5], v[4:5], -v[245:246]
	s_waitcnt vmcnt(2)
	v_add_f64 v[10:11], v[169:170], v[10:11]
	s_waitcnt vmcnt(0)
	v_add_f64 v[142:143], v[30:31], v[140:141]
	buffer_load_dword v30, off, s[48:51], 0 offset:368 ; 4-byte Folded Reload
	buffer_load_dword v31, off, s[48:51], 0 offset:372 ; 4-byte Folded Reload
	;; [unrolled: 1-line block ×4, first 2 shown]
	v_add_f64 v[4:5], v[4:5], v[22:23]
	v_add_f64 v[118:119], v[118:119], v[142:143]
	;; [unrolled: 1-line block ×3, first 2 shown]
	s_waitcnt vmcnt(2)
	v_add_f64 v[14:15], v[14:15], v[30:31]
	s_waitcnt vmcnt(0)
	v_add_f64 v[20:21], v[8:9], -v[128:129]
	buffer_load_dword v8, off, s[48:51], 0 offset:256 ; 4-byte Folded Reload
	buffer_load_dword v9, off, s[48:51], 0 offset:260 ; 4-byte Folded Reload
	;; [unrolled: 1-line block ×4, first 2 shown]
	v_add_f64 v[14:15], v[14:15], v[130:131]
	v_add_f64 v[20:21], v[116:117], v[20:21]
	;; [unrolled: 1-line block ×3, first 2 shown]
	s_waitcnt vmcnt(0)
	v_add_f64 v[144:145], v[8:9], -v[30:31]
	buffer_load_dword v8, off, s[48:51], 0 offset:280 ; 4-byte Folded Reload
	buffer_load_dword v9, off, s[48:51], 0 offset:284 ; 4-byte Folded Reload
	;; [unrolled: 1-line block ×4, first 2 shown]
	v_add_f64 v[116:117], v[116:117], v[144:145]
	s_waitcnt vmcnt(0)
	v_add_f64 v[30:31], v[30:31], -v[8:9]
	buffer_load_dword v8, off, s[48:51], 0 offset:288 ; 4-byte Folded Reload
	buffer_load_dword v9, off, s[48:51], 0 offset:292 ; 4-byte Folded Reload
	buffer_load_dword v128, off, s[48:51], 0 offset:344 ; 4-byte Folded Reload
	buffer_load_dword v129, off, s[48:51], 0 offset:348 ; 4-byte Folded Reload
	v_add_f64 v[30:31], v[30:31], v[116:117]
	s_waitcnt vmcnt(0)
	v_add_f64 v[128:129], v[128:129], v[8:9]
	buffer_load_dword v8, off, s[48:51], 0 offset:216 ; 4-byte Folded Reload
	buffer_load_dword v9, off, s[48:51], 0 offset:220 ; 4-byte Folded Reload
	;; [unrolled: 1-line block ×4, first 2 shown]
	v_add_f64 v[118:119], v[128:129], v[118:119]
	v_add_f64 v[128:129], v[142:143], v[215:216]
	s_waitcnt vmcnt(0)
	v_add_f64 v[146:147], v[130:131], -v[8:9]
	buffer_load_dword v8, off, s[48:51], 0 offset:296 ; 4-byte Folded Reload
	buffer_load_dword v9, off, s[48:51], 0 offset:300 ; 4-byte Folded Reload
	v_add_f64 v[20:21], v[146:147], v[20:21]
	s_waitcnt vmcnt(0)
	v_add_f64 v[144:145], v[8:9], -v[217:218]
	buffer_load_dword v8, off, s[48:51], 0 offset:264 ; 4-byte Folded Reload
	buffer_load_dword v9, off, s[48:51], 0 offset:268 ; 4-byte Folded Reload
	;; [unrolled: 1-line block ×4, first 2 shown]
	v_add_f64 v[30:31], v[144:145], v[30:31]
	s_waitcnt vmcnt(0)
	v_add_f64 v[150:151], v[130:131], v[8:9]
	buffer_load_dword v8, off, s[48:51], 0 offset:208 ; 4-byte Folded Reload
	buffer_load_dword v9, off, s[48:51], 0 offset:212 ; 4-byte Folded Reload
	buffer_load_dword v130, off, s[48:51], 0 offset:336 ; 4-byte Folded Reload
	buffer_load_dword v131, off, s[48:51], 0 offset:340 ; 4-byte Folded Reload
	v_add_f64 v[118:119], v[150:151], v[118:119]
	s_waitcnt vmcnt(0)
	v_add_f64 v[142:143], v[8:9], -v[130:131]
	buffer_load_dword v8, off, s[48:51], 0 offset:272 ; 4-byte Folded Reload
	buffer_load_dword v9, off, s[48:51], 0 offset:276 ; 4-byte Folded Reload
	v_add_f64 v[20:21], v[142:143], v[20:21]
	v_add_f64 v[142:143], v[10:11], v[2:3]
	s_waitcnt vmcnt(0)
	v_add_f64 v[116:117], v[8:9], -v[241:242]
	buffer_load_dword v8, off, s[48:51], 0 offset:248 ; 4-byte Folded Reload
	buffer_load_dword v9, off, s[48:51], 0 offset:252 ; 4-byte Folded Reload
	v_add_f64 v[30:31], v[116:117], v[30:31]
	v_add_f64 v[116:117], v[12:13], v[4:5]
	s_waitcnt vmcnt(0)
	v_add_f64 v[140:141], v[235:236], v[8:9]
	buffer_load_dword v8, off, s[48:51], 0 offset:480 ; 4-byte Folded Reload
	buffer_load_dword v9, off, s[48:51], 0 offset:484 ; 4-byte Folded Reload
	v_add_f64 v[140:141], v[140:141], v[118:119]
	s_waitcnt vmcnt(0)
	v_add_f64 v[14:15], v[14:15], v[8:9]
	buffer_load_dword v8, off, s[48:51], 0 offset:472 ; 4-byte Folded Reload
	buffer_load_dword v9, off, s[48:51], 0 offset:476 ; 4-byte Folded Reload
	s_waitcnt vmcnt(0)
	v_add_f64 v[128:129], v[128:129], v[8:9]
	buffer_load_dword v8, off, s[48:51], 0 offset:200 ; 4-byte Folded Reload
	buffer_load_dword v9, off, s[48:51], 0 offset:204 ; 4-byte Folded Reload
	s_waitcnt vmcnt(0)
	v_add_f64 v[146:147], v[8:9], -v[233:234]
	buffer_load_dword v8, off, s[48:51], 0 offset:328 ; 4-byte Folded Reload
	buffer_load_dword v9, off, s[48:51], 0 offset:332 ; 4-byte Folded Reload
	;; [unrolled: 1-line block ×6, first 2 shown]
	v_add_f64 v[20:21], v[146:147], v[20:21]
	s_waitcnt vmcnt(4)
	v_add_f64 v[8:9], v[8:9], -v[253:254]
	s_waitcnt vmcnt(2)
	v_add_f64 v[150:151], v[251:252], v[130:131]
	s_waitcnt vmcnt(0)
	v_add_f64 v[14:15], v[14:15], v[118:119]
	buffer_load_dword v118, off, s[48:51], 0 offset:352 ; 4-byte Folded Reload
	buffer_load_dword v119, off, s[48:51], 0 offset:356 ; 4-byte Folded Reload
	v_add_f64 v[130:131], v[150:151], v[140:141]
	v_add_f64 v[140:141], v[8:9], v[30:31]
	;; [unrolled: 1-line block ×3, first 2 shown]
	v_lshl_add_u32 v0, v156, 4, v190
	s_waitcnt vmcnt(0)
	v_add_f64 v[128:129], v[128:129], v[118:119]
	buffer_load_dword v118, off, s[48:51], 0 offset:192 ; 4-byte Folded Reload
	buffer_load_dword v119, off, s[48:51], 0 offset:196 ; 4-byte Folded Reload
	;; [unrolled: 1-line block ×4, first 2 shown]
	s_waitcnt vmcnt(2)
	v_add_f64 v[152:153], v[118:119], -v[249:250]
	s_waitcnt vmcnt(0)
	v_add_f64 v[146:147], v[14:15], v[2:3]
	buffer_load_dword v2, off, s[48:51], 0 offset:184 ; 4-byte Folded Reload
	buffer_load_dword v3, off, s[48:51], 0 offset:188 ; 4-byte Folded Reload
	v_add_f64 v[118:119], v[28:29], v[6:7]
	s_waitcnt vmcnt(0)
	v_add_f64 v[144:145], v[128:129], v[2:3]
	v_add_f64 v[128:129], v[152:153], v[20:21]
	ds_write_b128 v189, v[144:147]
	ds_write_b128 v0, v[128:131] offset:1152
	ds_write_b128 v0, v[140:143] offset:2304
	;; [unrolled: 1-line block ×10, first 2 shown]
.LBB0_19:
	s_or_b64 exec, exec, s[38:39]
	v_mov_b32_e32 v0, s13
	v_addc_co_u32_e64 v1, vcc, 0, v0, s[2:3]
	s_movk_i32 s2, 0x3180
	v_add_co_u32_e32 v116, vcc, s2, v255
	v_addc_co_u32_e32 v117, vcc, 0, v1, vcc
	s_movk_i32 s2, 0x3000
	v_add_co_u32_e32 v0, vcc, s2, v255
	s_movk_i32 s2, 0x4000
	v_add_co_u32_e64 v2, s[2:3], s2, v255
	v_addc_co_u32_e64 v3, s[2:3], 0, v1, s[2:3]
	s_waitcnt lgkmcnt(0)
	s_barrier
	global_load_dwordx4 v[128:131], v[2:3], off offset:2624
	global_load_dwordx4 v[132:135], v[2:3], off offset:4032
	;; [unrolled: 1-line block ×4, first 2 shown]
	s_movk_i32 s2, 0x5000
	v_add_co_u32_e64 v4, s[2:3], s2, v255
	v_addc_co_u32_e64 v5, s[2:3], 0, v1, s[2:3]
	global_load_dwordx4 v[144:147], v[4:5], off offset:1344
	global_load_dwordx4 v[148:151], v[4:5], off offset:2752
	v_addc_co_u32_e32 v1, vcc, 0, v1, vcc
	global_load_dwordx4 v[152:155], v[0:1], off offset:384
	global_load_dwordx4 v[157:160], v[2:3], off offset:512
	ds_read_b128 v[161:164], v189
	ds_read_b128 v[165:168], v189 offset:1408
	ds_read_b128 v[169:172], v189 offset:6336
	;; [unrolled: 1-line block ×7, first 2 shown]
	s_waitcnt vmcnt(7) lgkmcnt(5)
	v_mul_f64 v[0:1], v[171:172], v[130:131]
	v_mul_f64 v[2:3], v[169:170], v[130:131]
	s_waitcnt vmcnt(5)
	v_mul_f64 v[4:5], v[167:168], v[138:139]
	v_mul_f64 v[6:7], v[165:166], v[138:139]
	s_waitcnt lgkmcnt(4)
	v_mul_f64 v[8:9], v[175:176], v[134:135]
	v_mul_f64 v[10:11], v[173:174], v[134:135]
	s_waitcnt vmcnt(4) lgkmcnt(3)
	v_mul_f64 v[12:13], v[179:180], v[142:143]
	v_mul_f64 v[14:15], v[177:178], v[142:143]
	s_waitcnt vmcnt(3) lgkmcnt(1)
	;; [unrolled: 3-line block ×3, first 2 shown]
	v_mul_f64 v[20:21], v[193:194], v[150:151]
	s_waitcnt vmcnt(1)
	v_mul_f64 v[24:25], v[163:164], v[154:155]
	v_mul_f64 v[26:27], v[161:162], v[154:155]
	s_waitcnt vmcnt(0)
	v_mul_f64 v[28:29], v[183:184], v[159:160]
	v_mul_f64 v[30:31], v[181:182], v[159:160]
	v_mul_f64 v[22:23], v[191:192], v[150:151]
	v_fma_f64 v[169:170], v[169:170], v[128:129], -v[0:1]
	v_fma_f64 v[171:172], v[171:172], v[128:129], v[2:3]
	v_fma_f64 v[128:129], v[165:166], v[136:137], -v[4:5]
	v_fma_f64 v[130:131], v[167:168], v[136:137], v[6:7]
	;; [unrolled: 2-line block ×8, first 2 shown]
	ds_write_b128 v189, v[169:172] offset:6336
	ds_write_b128 v189, v[128:131] offset:1408
	;; [unrolled: 1-line block ×5, first 2 shown]
	ds_write_b128 v189, v[150:153]
	ds_write_b128 v189, v[159:162] offset:4224
	ds_write_b128 v189, v[146:149] offset:10560
	s_and_saveexec_b64 s[2:3], s[0:1]
	s_cbranch_execz .LBB0_21
; %bb.20:
	v_add_co_u32_e32 v0, vcc, 0x1000, v116
	v_addc_co_u32_e32 v1, vcc, 0, v117, vcc
	s_movk_i32 s12, 0x2000
	global_load_dwordx4 v[128:131], v[0:1], off offset:1536
	v_add_co_u32_e32 v0, vcc, s12, v116
	v_addc_co_u32_e32 v1, vcc, 0, v117, vcc
	global_load_dwordx4 v[116:119], v[0:1], off offset:3776
	ds_read_b128 v[132:135], v189 offset:5632
	ds_read_b128 v[136:139], v189 offset:11968
	s_waitcnt vmcnt(1) lgkmcnt(1)
	v_mul_f64 v[0:1], v[134:135], v[130:131]
	v_mul_f64 v[2:3], v[132:133], v[130:131]
	s_waitcnt vmcnt(0) lgkmcnt(0)
	v_mul_f64 v[4:5], v[138:139], v[118:119]
	v_mul_f64 v[6:7], v[136:137], v[118:119]
	v_fma_f64 v[130:131], v[132:133], v[128:129], -v[0:1]
	v_fma_f64 v[132:133], v[134:135], v[128:129], v[2:3]
	v_fma_f64 v[134:135], v[136:137], v[116:117], -v[4:5]
	v_fma_f64 v[136:137], v[138:139], v[116:117], v[6:7]
	ds_write_b128 v189, v[130:133] offset:5632
	ds_write_b128 v189, v[134:137] offset:11968
.LBB0_21:
	s_or_b64 exec, exec, s[2:3]
	s_waitcnt lgkmcnt(0)
	s_barrier
	ds_read_b128 v[136:139], v189
	ds_read_b128 v[116:119], v189 offset:1408
	ds_read_b128 v[152:155], v189 offset:6336
	;; [unrolled: 1-line block ×7, first 2 shown]
	s_and_saveexec_b64 s[2:3], s[0:1]
	s_cbranch_execz .LBB0_23
; %bb.22:
	v_lshl_add_u32 v0, v156, 4, v190
	ds_read_b128 v[124:127], v0 offset:5632
	ds_read_b128 v[120:123], v0 offset:11968
.LBB0_23:
	s_or_b64 exec, exec, s[2:3]
	s_waitcnt lgkmcnt(5)
	v_add_f64 v[152:153], v[136:137], -v[152:153]
	v_add_f64 v[154:155], v[138:139], -v[154:155]
	v_lshl_add_u32 v0, v156, 5, v190
	s_waitcnt lgkmcnt(0)
	s_barrier
	v_add_f64 v[148:149], v[116:117], -v[148:149]
	v_add_f64 v[150:151], v[118:119], -v[150:151]
	v_fma_f64 v[136:137], v[136:137], 2.0, -v[152:153]
	v_fma_f64 v[138:139], v[138:139], 2.0, -v[154:155]
	v_add_f64 v[144:145], v[128:129], -v[144:145]
	v_add_f64 v[146:147], v[130:131], -v[146:147]
	;; [unrolled: 1-line block ×4, first 2 shown]
	v_fma_f64 v[157:158], v[116:117], 2.0, -v[148:149]
	v_fma_f64 v[159:160], v[118:119], 2.0, -v[150:151]
	ds_write_b128 v0, v[136:139]
	ds_write_b128 v0, v[152:155] offset:16
	buffer_load_dword v0, off, s[48:51], 0 offset:96 ; 4-byte Folded Reload
	v_fma_f64 v[128:129], v[128:129], 2.0, -v[144:145]
	v_fma_f64 v[130:131], v[130:131], 2.0, -v[146:147]
	v_add_f64 v[120:121], v[124:125], -v[120:121]
	v_add_f64 v[122:123], v[126:127], -v[122:123]
	v_fma_f64 v[132:133], v[132:133], 2.0, -v[140:141]
	v_fma_f64 v[134:135], v[134:135], 2.0, -v[142:143]
	s_waitcnt vmcnt(0)
	ds_write_b128 v0, v[157:160]
	ds_write_b128 v0, v[148:151] offset:16
	buffer_load_dword v0, off, s[48:51], 0 offset:100 ; 4-byte Folded Reload
	v_fma_f64 v[116:117], v[124:125], 2.0, -v[120:121]
	v_fma_f64 v[118:119], v[126:127], 2.0, -v[122:123]
	s_waitcnt vmcnt(0)
	ds_write_b128 v0, v[128:131]
	ds_write_b128 v0, v[144:147] offset:16
	buffer_load_dword v0, off, s[48:51], 0 offset:104 ; 4-byte Folded Reload
	s_waitcnt vmcnt(0)
	ds_write_b128 v0, v[132:135]
	ds_write_b128 v0, v[140:143] offset:16
	s_and_saveexec_b64 s[2:3], s[0:1]
	s_cbranch_execz .LBB0_25
; %bb.24:
	buffer_load_dword v0, off, s[48:51], 0 offset:180 ; 4-byte Folded Reload
	s_waitcnt vmcnt(0)
	ds_write_b128 v0, v[116:119]
	ds_write_b128 v0, v[120:123] offset:16
.LBB0_25:
	s_or_b64 exec, exec, s[2:3]
	s_waitcnt lgkmcnt(0)
	s_barrier
	ds_read_b128 v[136:139], v189
	ds_read_b128 v[124:127], v189 offset:1408
	ds_read_b128 v[152:155], v189 offset:6336
	;; [unrolled: 1-line block ×7, first 2 shown]
	s_and_saveexec_b64 s[2:3], s[0:1]
	s_cbranch_execz .LBB0_27
; %bb.26:
	ds_read_b128 v[116:119], v189 offset:5632
	ds_read_b128 v[120:123], v189 offset:11968
.LBB0_27:
	s_or_b64 exec, exec, s[2:3]
	s_waitcnt lgkmcnt(5)
	v_mul_f64 v[0:1], v[34:35], v[154:155]
	s_waitcnt lgkmcnt(4)
	v_mul_f64 v[4:5], v[34:35], v[150:151]
	;; [unrolled: 2-line block ×3, first 2 shown]
	v_mul_f64 v[6:7], v[34:35], v[148:149]
	v_mul_f64 v[8:9], v[34:35], v[146:147]
	s_waitcnt lgkmcnt(0)
	s_barrier
	v_fma_f64 v[0:1], v[32:33], v[152:153], v[0:1]
	v_fma_f64 v[4:5], v[32:33], v[148:149], v[4:5]
	v_mul_f64 v[2:3], v[34:35], v[152:153]
	v_fma_f64 v[6:7], v[32:33], v[150:151], -v[6:7]
	v_mul_f64 v[12:13], v[34:35], v[142:143]
	v_mul_f64 v[14:15], v[34:35], v[140:141]
	v_fma_f64 v[8:9], v[32:33], v[144:145], v[8:9]
	v_mul_f64 v[16:17], v[34:35], v[122:123]
	v_add_f64 v[148:149], v[136:137], -v[0:1]
	v_fma_f64 v[0:1], v[32:33], v[146:147], -v[10:11]
	v_fma_f64 v[2:3], v[32:33], v[154:155], -v[2:3]
	v_mul_f64 v[18:19], v[34:35], v[120:121]
	v_fma_f64 v[10:11], v[32:33], v[142:143], -v[14:15]
	v_add_f64 v[142:143], v[126:127], -v[6:7]
	v_add_f64 v[144:145], v[128:129], -v[8:9]
	v_fma_f64 v[136:137], v[136:137], 2.0, -v[148:149]
	v_add_f64 v[146:147], v[130:131], -v[0:1]
	buffer_load_dword v0, off, s[48:51], 0 offset:120 ; 4-byte Folded Reload
	v_add_f64 v[150:151], v[138:139], -v[2:3]
	v_fma_f64 v[2:3], v[32:33], v[140:141], v[12:13]
	v_add_f64 v[140:141], v[124:125], -v[4:5]
	v_fma_f64 v[126:127], v[126:127], 2.0, -v[142:143]
	v_fma_f64 v[128:129], v[128:129], 2.0, -v[144:145]
	v_fma_f64 v[12:13], v[32:33], v[120:121], v[16:17]
	v_fma_f64 v[130:131], v[130:131], 2.0, -v[146:147]
	v_fma_f64 v[14:15], v[32:33], v[122:123], -v[18:19]
	v_fma_f64 v[138:139], v[138:139], 2.0, -v[150:151]
	v_add_f64 v[152:153], v[132:133], -v[2:3]
	v_fma_f64 v[124:125], v[124:125], 2.0, -v[140:141]
	v_add_f64 v[154:155], v[134:135], -v[10:11]
	s_waitcnt vmcnt(0)
	ds_write_b128 v0, v[136:139]
	ds_write_b128 v0, v[148:151] offset:32
	buffer_load_dword v0, off, s[48:51], 0 offset:116 ; 4-byte Folded Reload
	v_add_f64 v[120:121], v[116:117], -v[12:13]
	v_add_f64 v[122:123], v[118:119], -v[14:15]
	v_fma_f64 v[132:133], v[132:133], 2.0, -v[152:153]
	v_fma_f64 v[134:135], v[134:135], 2.0, -v[154:155]
	s_waitcnt vmcnt(0)
	ds_write_b128 v0, v[124:127]
	ds_write_b128 v0, v[140:143] offset:32
	buffer_load_dword v0, off, s[48:51], 0 offset:112 ; 4-byte Folded Reload
	v_fma_f64 v[32:33], v[116:117], 2.0, -v[120:121]
	v_fma_f64 v[34:35], v[118:119], 2.0, -v[122:123]
	s_waitcnt vmcnt(0)
	ds_write_b128 v0, v[128:131]
	ds_write_b128 v0, v[144:147] offset:32
	buffer_load_dword v0, off, s[48:51], 0 offset:108 ; 4-byte Folded Reload
	s_waitcnt vmcnt(0)
	ds_write_b128 v0, v[132:135]
	ds_write_b128 v0, v[152:155] offset:32
	s_and_saveexec_b64 s[2:3], s[0:1]
	s_cbranch_execz .LBB0_29
; %bb.28:
	s_movk_i32 s12, 0x3fc
	v_and_or_b32 v0, v196, s12, v206
	v_lshl_add_u32 v0, v0, 4, v190
	ds_write_b128 v0, v[32:35]
	ds_write_b128 v0, v[120:123] offset:32
.LBB0_29:
	s_or_b64 exec, exec, s[2:3]
	s_waitcnt lgkmcnt(0)
	s_barrier
	ds_read_b128 v[124:127], v189
	ds_read_b128 v[128:131], v189 offset:1408
	ds_read_b128 v[148:151], v189 offset:6336
	;; [unrolled: 1-line block ×7, first 2 shown]
	s_and_saveexec_b64 s[2:3], s[0:1]
	s_cbranch_execz .LBB0_31
; %bb.30:
	ds_read_b128 v[32:35], v189 offset:5632
	ds_read_b128 v[120:123], v189 offset:11968
.LBB0_31:
	s_or_b64 exec, exec, s[2:3]
	s_waitcnt lgkmcnt(5)
	v_mul_f64 v[0:1], v[38:39], v[150:151]
	s_waitcnt lgkmcnt(0)
	v_mul_f64 v[16:17], v[38:39], v[122:123]
	v_mul_f64 v[18:19], v[38:39], v[120:121]
	s_barrier
	v_mul_f64 v[2:3], v[38:39], v[148:149]
	v_mul_f64 v[4:5], v[38:39], v[138:139]
	v_fma_f64 v[0:1], v[36:37], v[148:149], v[0:1]
	v_fma_f64 v[16:17], v[36:37], v[120:121], v[16:17]
	v_fma_f64 v[18:19], v[36:37], v[122:123], -v[18:19]
	v_mul_f64 v[6:7], v[38:39], v[136:137]
	v_mul_f64 v[8:9], v[38:39], v[146:147]
	;; [unrolled: 1-line block ×3, first 2 shown]
	v_fma_f64 v[2:3], v[36:37], v[150:151], -v[2:3]
	v_fma_f64 v[4:5], v[36:37], v[136:137], v[4:5]
	v_add_f64 v[120:121], v[124:125], -v[0:1]
	buffer_load_dword v0, off, s[48:51], 0 offset:136 ; 4-byte Folded Reload
	v_mul_f64 v[12:13], v[38:39], v[142:143]
	v_fma_f64 v[6:7], v[36:37], v[138:139], -v[6:7]
	v_mul_f64 v[14:15], v[38:39], v[140:141]
	v_fma_f64 v[8:9], v[36:37], v[144:145], v[8:9]
	v_add_f64 v[122:123], v[126:127], -v[2:3]
	v_add_f64 v[136:137], v[128:129], -v[4:5]
	v_fma_f64 v[124:125], v[124:125], 2.0, -v[120:121]
	v_fma_f64 v[10:11], v[36:37], v[146:147], -v[10:11]
	v_fma_f64 v[12:13], v[36:37], v[140:141], v[12:13]
	v_add_f64 v[138:139], v[130:131], -v[6:7]
	v_fma_f64 v[14:15], v[36:37], v[142:143], -v[14:15]
	v_add_f64 v[140:141], v[132:133], -v[8:9]
	v_fma_f64 v[126:127], v[126:127], 2.0, -v[122:123]
	v_fma_f64 v[128:129], v[128:129], 2.0, -v[136:137]
	v_add_f64 v[36:37], v[32:33], -v[16:17]
	v_add_f64 v[142:143], v[134:135], -v[10:11]
	;; [unrolled: 1-line block ×3, first 2 shown]
	v_fma_f64 v[130:131], v[130:131], 2.0, -v[138:139]
	v_add_f64 v[146:147], v[118:119], -v[14:15]
	v_fma_f64 v[132:133], v[132:133], 2.0, -v[140:141]
	v_add_f64 v[38:39], v[34:35], -v[18:19]
	s_waitcnt vmcnt(0)
	ds_write_b128 v0, v[124:127]
	ds_write_b128 v0, v[120:123] offset:64
	buffer_load_dword v0, off, s[48:51], 0 offset:132 ; 4-byte Folded Reload
	v_fma_f64 v[134:135], v[134:135], 2.0, -v[142:143]
	v_fma_f64 v[116:117], v[116:117], 2.0, -v[144:145]
	;; [unrolled: 1-line block ×3, first 2 shown]
	s_waitcnt vmcnt(0)
	ds_write_b128 v0, v[128:131]
	ds_write_b128 v0, v[136:139] offset:64
	buffer_load_dword v0, off, s[48:51], 0 offset:128 ; 4-byte Folded Reload
	s_waitcnt vmcnt(0)
	ds_write_b128 v0, v[132:135]
	ds_write_b128 v0, v[140:143] offset:64
	buffer_load_dword v0, off, s[48:51], 0 offset:124 ; 4-byte Folded Reload
	s_waitcnt vmcnt(0)
	ds_write_b128 v0, v[116:119]
	ds_write_b128 v0, v[144:147] offset:64
	s_and_saveexec_b64 s[2:3], s[0:1]
	s_cbranch_execz .LBB0_33
; %bb.32:
	v_fma_f64 v[34:35], v[34:35], 2.0, -v[38:39]
	v_fma_f64 v[32:33], v[32:33], 2.0, -v[36:37]
	s_movk_i32 s12, 0x3f8
	v_and_b32_e32 v0, 3, v156
	v_and_or_b32 v0, v196, s12, v0
	v_lshl_add_u32 v0, v0, 4, v190
	ds_write_b128 v0, v[32:35]
	ds_write_b128 v0, v[36:39] offset:64
.LBB0_33:
	s_or_b64 exec, exec, s[2:3]
	s_waitcnt lgkmcnt(0)
	s_barrier
	ds_read_b128 v[32:35], v189 offset:4224
	ds_read_b128 v[116:119], v189
	ds_read_b128 v[120:123], v189 offset:1408
	ds_read_b128 v[124:127], v189 offset:8448
	;; [unrolled: 1-line block ×4, first 2 shown]
	s_waitcnt lgkmcnt(5)
	v_mul_f64 v[2:3], v[46:47], v[32:33]
	v_mul_f64 v[0:1], v[46:47], v[34:35]
	s_waitcnt lgkmcnt(2)
	v_mul_f64 v[6:7], v[42:43], v[124:125]
	v_mul_f64 v[4:5], v[42:43], v[126:127]
	ds_read_b128 v[136:139], v189 offset:5632
	ds_read_b128 v[140:143], v189 offset:7040
	;; [unrolled: 1-line block ×3, first 2 shown]
	s_waitcnt lgkmcnt(4)
	v_mul_f64 v[12:13], v[42:43], v[130:131]
	v_fma_f64 v[2:3], v[44:45], v[34:35], -v[2:3]
	s_waitcnt lgkmcnt(2)
	v_mul_f64 v[8:9], v[46:47], v[138:139]
	v_fma_f64 v[6:7], v[40:41], v[126:127], -v[6:7]
	v_fma_f64 v[0:1], v[44:45], v[32:33], v[0:1]
	v_fma_f64 v[4:5], v[40:41], v[124:125], v[4:5]
	s_waitcnt lgkmcnt(1)
	v_mul_f64 v[16:17], v[46:47], v[142:143]
	s_waitcnt lgkmcnt(0)
	v_mul_f64 v[22:23], v[42:43], v[146:147]
	v_mul_f64 v[18:19], v[46:47], v[140:141]
	;; [unrolled: 1-line block ×3, first 2 shown]
	v_fma_f64 v[8:9], v[44:45], v[136:137], v[8:9]
	v_add_f64 v[30:31], v[2:3], v[6:7]
	v_add_f64 v[26:27], v[116:117], v[0:1]
	;; [unrolled: 1-line block ×3, first 2 shown]
	v_fma_f64 v[16:17], v[44:45], v[140:141], v[16:17]
	v_fma_f64 v[22:23], v[40:41], v[144:145], v[22:23]
	v_add_f64 v[0:1], v[0:1], -v[4:5]
	s_mov_b32 s2, 0xe8584caa
	s_mov_b32 s3, 0xbfebb67a
	v_fma_f64 v[30:31], v[30:31], -0.5, v[118:119]
	s_mov_b32 s13, 0x3febb67a
	s_mov_b32 s12, s2
	v_mul_f64 v[10:11], v[46:47], v[136:137]
	v_mul_f64 v[14:15], v[42:43], v[128:129]
	v_fma_f64 v[12:13], v[40:41], v[128:129], v[12:13]
	v_fma_f64 v[18:19], v[44:45], v[142:143], -v[18:19]
	v_fma_f64 v[24:25], v[40:41], v[146:147], -v[24:25]
	v_add_f64 v[32:33], v[26:27], v[4:5]
	v_add_f64 v[4:5], v[120:121], v[8:9]
	v_fma_f64 v[42:43], v[0:1], s[12:13], v[30:31]
	v_fma_f64 v[46:47], v[0:1], s[2:3], v[30:31]
	v_add_f64 v[0:1], v[16:17], v[22:23]
	v_fma_f64 v[10:11], v[44:45], v[138:139], -v[10:11]
	v_fma_f64 v[14:15], v[40:41], v[130:131], -v[14:15]
	v_fma_f64 v[20:21], v[20:21], -0.5, v[116:117]
	v_add_f64 v[28:29], v[2:3], -v[6:7]
	v_add_f64 v[26:27], v[8:9], v[12:13]
	v_add_f64 v[2:3], v[118:119], v[2:3]
	;; [unrolled: 1-line block ×3, first 2 shown]
	v_add_f64 v[8:9], v[8:9], -v[12:13]
	v_fma_f64 v[0:1], v[0:1], -0.5, v[132:133]
	v_add_f64 v[12:13], v[18:19], -v[24:25]
	v_add_f64 v[118:119], v[10:11], -v[14:15]
	s_barrier
	v_add_f64 v[34:35], v[2:3], v[6:7]
	v_add_f64 v[2:3], v[10:11], v[14:15]
	;; [unrolled: 1-line block ×4, first 2 shown]
	v_fma_f64 v[132:133], v[12:13], s[2:3], v[0:1]
	v_fma_f64 v[136:137], v[12:13], s[12:13], v[0:1]
	buffer_load_dword v0, off, s[48:51], 0 offset:160 ; 4-byte Folded Reload
	v_fma_f64 v[40:41], v[28:29], s[2:3], v[20:21]
	v_fma_f64 v[44:45], v[28:29], s[12:13], v[20:21]
	v_fma_f64 v[26:27], v[26:27], -0.5, v[120:121]
	v_fma_f64 v[2:3], v[2:3], -0.5, v[122:123]
	v_add_f64 v[4:5], v[18:19], v[24:25]
	v_add_f64 v[18:19], v[134:135], v[18:19]
	v_add_f64 v[16:17], v[16:17], -v[22:23]
	v_add_f64 v[128:129], v[10:11], v[22:23]
	s_waitcnt vmcnt(0)
	ds_write_b128 v0, v[32:35]
	ds_write_b128 v0, v[40:43] offset:128
	ds_write_b128 v0, v[44:47] offset:256
	buffer_load_dword v0, off, s[48:51], 0 offset:152 ; 4-byte Folded Reload
	v_fma_f64 v[120:121], v[118:119], s[2:3], v[26:27]
	v_fma_f64 v[124:125], v[118:119], s[12:13], v[26:27]
	v_add_f64 v[118:119], v[6:7], v[14:15]
	v_fma_f64 v[122:123], v[8:9], s[12:13], v[2:3]
	v_fma_f64 v[126:127], v[8:9], s[2:3], v[2:3]
	v_fma_f64 v[4:5], v[4:5], -0.5, v[134:135]
	v_add_f64 v[130:131], v[18:19], v[24:25]
	s_waitcnt vmcnt(0)
	ds_write_b128 v0, v[116:119]
	ds_write_b128 v0, v[120:123] offset:128
	ds_write_b128 v0, v[124:127] offset:256
	buffer_load_dword v0, off, s[48:51], 0 offset:144 ; 4-byte Folded Reload
	v_fma_f64 v[134:135], v[16:17], s[12:13], v[4:5]
	v_fma_f64 v[138:139], v[16:17], s[2:3], v[4:5]
	s_waitcnt vmcnt(0)
	ds_write_b128 v0, v[128:131]
	ds_write_b128 v0, v[132:135] offset:128
	ds_write_b128 v0, v[136:139] offset:256
	s_waitcnt lgkmcnt(0)
	s_barrier
	ds_read_b128 v[32:35], v189 offset:4224
	ds_read_b128 v[40:43], v189
	ds_read_b128 v[116:119], v189 offset:1408
	ds_read_b128 v[120:123], v189 offset:2816
	;; [unrolled: 1-line block ×4, first 2 shown]
	s_waitcnt lgkmcnt(5)
	v_mul_f64 v[2:3], v[70:71], v[32:33]
	v_mul_f64 v[0:1], v[70:71], v[34:35]
	ds_read_b128 v[128:131], v189 offset:5632
	ds_read_b128 v[132:135], v189 offset:7040
	s_waitcnt lgkmcnt(3)
	v_mul_f64 v[6:7], v[62:63], v[44:45]
	v_mul_f64 v[4:5], v[62:63], v[46:47]
	ds_read_b128 v[136:139], v189 offset:11264
	s_waitcnt lgkmcnt(2)
	v_mul_f64 v[8:9], v[66:67], v[130:131]
	s_waitcnt lgkmcnt(1)
	v_mul_f64 v[16:17], v[78:79], v[134:135]
	v_fma_f64 v[2:3], v[68:69], v[34:35], -v[2:3]
	v_fma_f64 v[0:1], v[68:69], v[32:33], v[0:1]
	s_waitcnt lgkmcnt(0)
	v_mul_f64 v[22:23], v[58:59], v[138:139]
	v_fma_f64 v[6:7], v[60:61], v[46:47], -v[6:7]
	v_fma_f64 v[4:5], v[60:61], v[44:45], v[4:5]
	v_mul_f64 v[12:13], v[50:51], v[126:127]
	v_fma_f64 v[8:9], v[64:65], v[128:129], v[8:9]
	v_mul_f64 v[18:19], v[78:79], v[132:133]
	;; [unrolled: 2-line block ×3, first 2 shown]
	v_add_f64 v[28:29], v[40:41], v[0:1]
	v_add_f64 v[26:27], v[2:3], v[6:7]
	;; [unrolled: 1-line block ×3, first 2 shown]
	v_fma_f64 v[22:23], v[56:57], v[136:137], v[22:23]
	v_add_f64 v[0:1], v[0:1], -v[4:5]
	v_mul_f64 v[14:15], v[50:51], v[124:125]
	v_fma_f64 v[12:13], v[48:49], v[124:125], v[12:13]
	v_fma_f64 v[18:19], v[76:77], v[134:135], -v[18:19]
	v_add_f64 v[30:31], v[2:3], -v[6:7]
	v_fma_f64 v[26:27], v[26:27], -0.5, v[42:43]
	v_fma_f64 v[24:25], v[56:57], v[138:139], -v[24:25]
	v_add_f64 v[2:3], v[42:43], v[2:3]
	v_add_f64 v[32:33], v[28:29], v[4:5]
	;; [unrolled: 1-line block ×3, first 2 shown]
	v_mul_f64 v[10:11], v[66:67], v[128:129]
	v_fma_f64 v[14:15], v[48:49], v[126:127], -v[14:15]
	v_add_f64 v[34:35], v[8:9], v[12:13]
	v_fma_f64 v[42:43], v[0:1], s[12:13], v[26:27]
	v_fma_f64 v[46:47], v[0:1], s[2:3], v[26:27]
	v_add_f64 v[0:1], v[16:17], v[22:23]
	v_add_f64 v[8:9], v[8:9], -v[12:13]
	v_add_f64 v[48:49], v[4:5], v[12:13]
	v_add_f64 v[12:13], v[18:19], -v[24:25]
	v_fma_f64 v[10:11], v[64:65], v[130:131], -v[10:11]
	s_barrier
	v_fma_f64 v[0:1], v[0:1], -0.5, v[120:121]
	v_fma_f64 v[20:21], v[20:21], -0.5, v[40:41]
	;; [unrolled: 1-line block ×3, first 2 shown]
	v_add_f64 v[34:35], v[2:3], v[6:7]
	v_add_f64 v[2:3], v[10:11], v[14:15]
	v_add_f64 v[50:51], v[10:11], -v[14:15]
	v_add_f64 v[6:7], v[118:119], v[10:11]
	v_add_f64 v[4:5], v[18:19], v[24:25]
	v_fma_f64 v[68:69], v[12:13], s[2:3], v[0:1]
	v_fma_f64 v[64:65], v[12:13], s[12:13], v[0:1]
	buffer_load_dword v0, off, s[48:51], 0 offset:156 ; 4-byte Folded Reload
	v_fma_f64 v[40:41], v[30:31], s[2:3], v[20:21]
	v_fma_f64 v[44:45], v[30:31], s[12:13], v[20:21]
	v_fma_f64 v[2:3], v[2:3], -0.5, v[118:119]
	v_fma_f64 v[56:57], v[50:51], s[2:3], v[28:29]
	v_fma_f64 v[60:61], v[50:51], s[12:13], v[28:29]
	v_add_f64 v[50:51], v[6:7], v[14:15]
	v_add_f64 v[10:11], v[120:121], v[16:17]
	;; [unrolled: 1-line block ×3, first 2 shown]
	v_fma_f64 v[4:5], v[4:5], -0.5, v[122:123]
	v_add_f64 v[16:17], v[16:17], -v[22:23]
	v_fma_f64 v[58:59], v[8:9], s[12:13], v[2:3]
	v_fma_f64 v[62:63], v[8:9], s[2:3], v[2:3]
	s_waitcnt vmcnt(0)
	ds_write_b128 v0, v[32:35]
	ds_write_b128 v0, v[40:43] offset:384
	ds_write_b128 v0, v[44:47] offset:768
	buffer_load_dword v0, off, s[48:51], 0 offset:148 ; 4-byte Folded Reload
	v_add_f64 v[76:77], v[10:11], v[22:23]
	v_add_f64 v[78:79], v[18:19], v[24:25]
	v_fma_f64 v[70:71], v[16:17], s[12:13], v[4:5]
	v_fma_f64 v[66:67], v[16:17], s[2:3], v[4:5]
	s_waitcnt vmcnt(0)
	ds_write_b128 v0, v[48:51]
	ds_write_b128 v0, v[56:59] offset:384
	ds_write_b128 v0, v[60:63] offset:768
	buffer_load_dword v0, off, s[48:51], 0 offset:140 ; 4-byte Folded Reload
	s_waitcnt vmcnt(0)
	ds_write_b128 v0, v[76:79]
	ds_write_b128 v0, v[68:71] offset:384
	ds_write_b128 v0, v[64:67] offset:768
	s_waitcnt lgkmcnt(0)
	s_barrier
	s_and_saveexec_b64 s[2:3], s[4:5]
	s_cbranch_execz .LBB0_35
; %bb.34:
	ds_read_b128 v[32:35], v189
	ds_read_b128 v[40:43], v189 offset:1152
	ds_read_b128 v[44:47], v189 offset:2304
	;; [unrolled: 1-line block ×10, first 2 shown]
.LBB0_35:
	s_or_b64 exec, exec, s[2:3]
	s_and_saveexec_b64 s[2:3], s[4:5]
	s_cbranch_execz .LBB0_37
; %bb.36:
	s_waitcnt lgkmcnt(5)
	v_mul_f64 v[0:1], v[106:107], v[62:63]
	s_waitcnt lgkmcnt(4)
	v_mul_f64 v[2:3], v[98:99], v[78:79]
	v_mul_f64 v[4:5], v[106:107], v[60:61]
	;; [unrolled: 1-line block ×3, first 2 shown]
	s_waitcnt lgkmcnt(3)
	v_mul_f64 v[10:11], v[94:95], v[70:71]
	v_mul_f64 v[8:9], v[86:87], v[58:59]
	;; [unrolled: 1-line block ×3, first 2 shown]
	s_waitcnt lgkmcnt(0)
	v_mul_f64 v[16:17], v[102:103], v[112:113]
	v_fma_f64 v[98:99], v[104:105], v[60:61], v[0:1]
	v_fma_f64 v[60:61], v[96:97], v[76:77], v[2:3]
	v_mul_f64 v[2:3], v[94:95], v[68:69]
	v_fma_f64 v[76:77], v[104:105], v[62:63], -v[4:5]
	v_mul_f64 v[4:5], v[82:83], v[50:51]
	v_mul_f64 v[0:1], v[86:87], v[56:57]
	v_fma_f64 v[62:63], v[92:93], v[68:69], v[10:11]
	v_fma_f64 v[68:69], v[96:97], v[78:79], -v[6:7]
	v_mul_f64 v[6:7], v[90:91], v[66:67]
	v_fma_f64 v[86:87], v[84:85], v[56:57], v[8:9]
	v_fma_f64 v[70:71], v[92:93], v[70:71], -v[2:3]
	v_mul_f64 v[2:3], v[82:83], v[48:49]
	v_fma_f64 v[94:95], v[80:81], v[48:49], v[4:5]
	v_mul_f64 v[4:5], v[90:91], v[64:65]
	v_fma_f64 v[84:85], v[84:85], v[58:59], -v[0:1]
	v_mul_f64 v[8:9], v[74:75], v[42:43]
	v_fma_f64 v[58:59], v[88:89], v[64:65], v[6:7]
	v_mul_f64 v[10:11], v[102:103], v[114:115]
	s_mov_b32 s22, 0xfd768dbf
	v_fma_f64 v[64:65], v[80:81], v[50:51], -v[2:3]
	v_mul_f64 v[2:3], v[54:55], v[46:47]
	v_fma_f64 v[50:51], v[88:89], v[66:67], -v[4:5]
	v_mul_f64 v[4:5], v[110:111], v[38:39]
	s_mov_b32 s23, 0xbfd207e7
	s_mov_b32 s28, 0xf8bb580b
	;; [unrolled: 1-line block ×5, first 2 shown]
	v_fma_f64 v[74:75], v[52:53], v[44:45], v[2:3]
	v_fma_f64 v[2:3], v[72:73], v[40:41], v[8:9]
	;; [unrolled: 1-line block ×4, first 2 shown]
	v_mul_f64 v[4:5], v[54:55], v[44:45]
	v_mul_f64 v[8:9], v[110:111], v[36:37]
	v_fma_f64 v[10:11], v[72:73], v[42:43], -v[14:15]
	v_fma_f64 v[42:43], v[100:101], v[114:115], -v[16:17]
	v_add_f64 v[82:83], v[94:95], -v[58:59]
	v_add_f64 v[72:73], v[64:65], -v[50:51]
	;; [unrolled: 1-line block ×4, first 2 shown]
	v_fma_f64 v[4:5], v[52:53], v[46:47], -v[4:5]
	v_fma_f64 v[44:45], v[108:109], v[38:39], -v[8:9]
	v_add_f64 v[26:27], v[2:3], v[40:41]
	v_add_f64 v[8:9], v[10:11], -v[42:43]
	v_add_f64 v[20:21], v[10:11], v[42:43]
	v_add_f64 v[96:97], v[74:75], v[66:67]
	v_mul_f64 v[22:23], v[14:15], s[28:29]
	v_mul_f64 v[18:19], v[16:17], s[22:23]
	s_mov_b32 s16, 0xbb3a28a1
	v_add_f64 v[24:25], v[4:5], -v[44:45]
	v_add_f64 v[30:31], v[4:5], v[44:45]
	v_mul_f64 v[28:29], v[8:9], s[22:23]
	s_mov_b32 s24, 0x8764f0ba
	s_mov_b32 s17, 0xbfe82f19
	;; [unrolled: 1-line block ×3, first 2 shown]
	v_fma_f64 v[36:37], v[20:21], s[20:21], v[18:19]
	v_add_f64 v[92:93], v[86:87], -v[62:63]
	v_mul_f64 v[46:47], v[24:25], s[28:29]
	v_mul_f64 v[12:13], v[82:83], s[16:17]
	v_fma_f64 v[38:39], v[26:27], s[20:21], -v[28:29]
	v_add_f64 v[80:81], v[64:65], v[50:51]
	v_fma_f64 v[52:53], v[30:31], s[24:25], v[22:23]
	v_add_f64 v[112:113], v[84:85], -v[70:71]
	v_add_f64 v[36:37], v[34:35], v[36:37]
	v_add_f64 v[114:115], v[94:95], v[58:59]
	v_mul_f64 v[54:55], v[72:73], s[16:17]
	v_fma_f64 v[88:89], v[96:97], s[24:25], -v[46:47]
	v_add_f64 v[38:39], v[32:33], v[38:39]
	v_fma_f64 v[18:19], v[20:21], s[20:21], -v[18:19]
	s_mov_b32 s18, 0x7f775887
	s_mov_b32 s13, 0x3fed1bb4
	;; [unrolled: 1-line block ×4, first 2 shown]
	v_add_f64 v[78:79], v[98:99], -v[60:61]
	v_mul_f64 v[6:7], v[92:93], s[12:13]
	v_add_f64 v[48:49], v[84:85], v[70:71]
	v_fma_f64 v[90:91], v[80:81], s[18:19], v[12:13]
	v_add_f64 v[36:37], v[52:53], v[36:37]
	v_add_f64 v[116:117], v[76:77], -v[68:69]
	v_add_f64 v[118:119], v[86:87], v[62:63]
	v_mul_f64 v[52:53], v[112:113], s[12:13]
	v_fma_f64 v[100:101], v[114:115], s[18:19], -v[54:55]
	v_add_f64 v[38:39], v[88:89], v[38:39]
	v_fma_f64 v[22:23], v[30:31], s[24:25], -v[22:23]
	v_add_f64 v[18:19], v[34:35], v[18:19]
	s_mov_b32 s4, 0x43842ef
	s_mov_b32 s14, 0xd9c712b6
	s_mov_b32 s5, 0xbfefac9e
	s_mov_b32 s15, 0x3fda9628
	v_add_f64 v[56:57], v[76:77], v[68:69]
	v_mul_f64 v[0:1], v[78:79], s[4:5]
	v_fma_f64 v[88:89], v[48:49], s[14:15], v[6:7]
	v_add_f64 v[36:37], v[90:91], v[36:37]
	v_add_f64 v[120:121], v[98:99], v[60:61]
	v_mul_f64 v[90:91], v[116:117], s[4:5]
	v_fma_f64 v[102:103], v[118:119], s[14:15], -v[52:53]
	v_add_f64 v[38:39], v[100:101], v[38:39]
	v_fma_f64 v[12:13], v[80:81], s[18:19], -v[12:13]
	v_add_f64 v[18:19], v[22:23], v[18:19]
	s_mov_b32 s26, 0x640f44db
	s_mov_b32 s27, 0xbfc2375f
	v_fma_f64 v[22:23], v[56:57], s[26:27], v[0:1]
	v_add_f64 v[36:37], v[88:89], v[36:37]
	v_fma_f64 v[88:89], v[120:121], s[26:27], -v[90:91]
	v_add_f64 v[100:101], v[102:103], v[38:39]
	v_fma_f64 v[6:7], v[48:49], s[14:15], -v[6:7]
	v_add_f64 v[12:13], v[12:13], v[18:19]
	v_mul_f64 v[18:19], v[16:17], s[16:17]
	s_mov_b32 s35, 0x3fefac9e
	s_mov_b32 s34, s4
	v_add_f64 v[38:39], v[22:23], v[36:37]
	v_fma_f64 v[22:23], v[26:27], s[20:21], v[28:29]
	v_add_f64 v[36:37], v[88:89], v[100:101]
	v_fma_f64 v[28:29], v[114:115], s[18:19], v[54:55]
	;; [unrolled: 2-line block ×3, first 2 shown]
	v_mul_f64 v[54:55], v[8:9], s[16:17]
	v_mul_f64 v[88:89], v[14:15], s[34:35]
	v_fma_f64 v[90:91], v[20:21], s[18:19], v[18:19]
	s_mov_b32 s31, 0xbfe14ced
	s_mov_b32 s30, s28
	v_fma_f64 v[46:47], v[96:97], s[24:25], v[46:47]
	v_add_f64 v[22:23], v[32:33], v[22:23]
	v_mul_f64 v[100:101], v[24:25], s[34:35]
	v_fma_f64 v[102:103], v[26:27], s[18:19], -v[54:55]
	v_mul_f64 v[104:105], v[82:83], s[30:31]
	v_fma_f64 v[106:107], v[30:31], s[26:27], v[88:89]
	v_add_f64 v[90:91], v[34:35], v[90:91]
	v_mul_f64 v[108:109], v[72:73], s[30:31]
	v_mul_f64 v[110:111], v[92:93], s[22:23]
	v_add_f64 v[22:23], v[46:47], v[22:23]
	v_fma_f64 v[46:47], v[118:119], s[14:15], v[52:53]
	v_fma_f64 v[52:53], v[96:97], s[26:27], -v[100:101]
	v_add_f64 v[102:103], v[32:33], v[102:103]
	v_fma_f64 v[122:123], v[80:81], s[24:25], v[104:105]
	v_add_f64 v[90:91], v[106:107], v[90:91]
	v_fma_f64 v[18:19], v[20:21], s[18:19], -v[18:19]
	v_fma_f64 v[106:107], v[114:115], s[24:25], -v[108:109]
	v_add_f64 v[22:23], v[28:29], v[22:23]
	v_fma_f64 v[124:125], v[48:49], s[20:21], v[110:111]
	v_fma_f64 v[88:89], v[30:31], s[26:27], -v[88:89]
	v_add_f64 v[52:53], v[52:53], v[102:103]
	v_mul_f64 v[102:103], v[78:79], s[12:13]
	v_add_f64 v[90:91], v[122:123], v[90:91]
	v_add_f64 v[18:19], v[34:35], v[18:19]
	v_fma_f64 v[0:1], v[56:57], s[26:27], -v[0:1]
	v_mul_f64 v[28:29], v[112:113], s[22:23]
	v_add_f64 v[22:23], v[46:47], v[22:23]
	v_fma_f64 v[104:105], v[80:81], s[24:25], -v[104:105]
	v_add_f64 v[52:53], v[106:107], v[52:53]
	v_fma_f64 v[46:47], v[56:57], s[14:15], v[102:103]
	v_fma_f64 v[106:107], v[26:27], s[18:19], v[54:55]
	v_add_f64 v[18:19], v[88:89], v[18:19]
	v_add_f64 v[88:89], v[124:125], v[90:91]
	v_fma_f64 v[126:127], v[118:119], s[20:21], -v[28:29]
	v_add_f64 v[54:55], v[0:1], v[6:7]
	v_fma_f64 v[0:1], v[48:49], s[20:21], -v[110:111]
	v_fma_f64 v[6:7], v[96:97], s[26:27], v[100:101]
	s_mov_b32 s37, 0x3fd207e7
	v_add_f64 v[100:101], v[32:33], v[106:107]
	v_add_f64 v[18:19], v[104:105], v[18:19]
	;; [unrolled: 1-line block ×3, first 2 shown]
	v_mul_f64 v[46:47], v[16:17], s[4:5]
	s_mov_b32 s36, s22
	v_mul_f64 v[122:123], v[116:117], s[12:13]
	v_add_f64 v[126:127], v[126:127], v[52:53]
	v_add_f64 v[52:53], v[12:13], v[22:23]
	v_fma_f64 v[12:13], v[56:57], s[14:15], -v[102:103]
	v_fma_f64 v[22:23], v[114:115], s[24:25], v[108:109]
	v_add_f64 v[6:7], v[6:7], v[100:101]
	v_add_f64 v[0:1], v[0:1], v[18:19]
	v_fma_f64 v[18:19], v[118:119], s[20:21], v[28:29]
	v_mul_f64 v[28:29], v[8:9], s[4:5]
	v_mul_f64 v[100:101], v[14:15], s[36:37]
	v_fma_f64 v[104:105], v[20:21], s[26:27], v[46:47]
	v_fma_f64 v[124:125], v[120:121], s[14:15], -v[122:123]
	v_mul_f64 v[106:107], v[82:83], s[12:13]
	v_add_f64 v[6:7], v[22:23], v[6:7]
	v_add_f64 v[102:103], v[12:13], v[0:1]
	v_mul_f64 v[12:13], v[24:25], s[36:37]
	v_fma_f64 v[22:23], v[26:27], s[26:27], -v[28:29]
	v_fma_f64 v[108:109], v[30:31], s[20:21], v[100:101]
	v_add_f64 v[104:105], v[34:35], v[104:105]
	v_fma_f64 v[46:47], v[20:21], s[26:27], -v[46:47]
	v_add_f64 v[88:89], v[124:125], v[126:127]
	v_fma_f64 v[0:1], v[120:121], s[14:15], v[122:123]
	v_add_f64 v[6:7], v[18:19], v[6:7]
	v_mul_f64 v[18:19], v[72:73], s[12:13]
	v_fma_f64 v[110:111], v[96:97], s[20:21], -v[12:13]
	v_add_f64 v[22:23], v[32:33], v[22:23]
	v_mul_f64 v[122:123], v[92:93], s[30:31]
	v_fma_f64 v[124:125], v[80:81], s[14:15], v[106:107]
	v_add_f64 v[104:105], v[108:109], v[104:105]
	v_fma_f64 v[100:101], v[30:31], s[20:21], -v[100:101]
	v_add_f64 v[46:47], v[34:35], v[46:47]
	v_mul_f64 v[108:109], v[112:113], s[30:31]
	v_fma_f64 v[126:127], v[114:115], s[14:15], -v[18:19]
	v_add_f64 v[22:23], v[110:111], v[22:23]
	v_mul_f64 v[110:111], v[78:79], s[16:17]
	v_fma_f64 v[128:129], v[48:49], s[24:25], v[122:123]
	v_add_f64 v[104:105], v[124:125], v[104:105]
	v_fma_f64 v[106:107], v[80:81], s[14:15], -v[106:107]
	v_add_f64 v[46:47], v[100:101], v[46:47]
	v_fma_f64 v[28:29], v[26:27], s[26:27], v[28:29]
	v_mul_f64 v[124:125], v[116:117], s[16:17]
	v_fma_f64 v[130:131], v[118:119], s[24:25], -v[108:109]
	v_add_f64 v[22:23], v[126:127], v[22:23]
	v_add_f64 v[100:101], v[0:1], v[6:7]
	v_fma_f64 v[0:1], v[56:57], s[18:19], v[110:111]
	v_add_f64 v[6:7], v[128:129], v[104:105]
	v_fma_f64 v[104:105], v[48:49], s[24:25], -v[122:123]
	v_add_f64 v[46:47], v[106:107], v[46:47]
	v_fma_f64 v[12:13], v[96:97], s[20:21], v[12:13]
	v_add_f64 v[28:29], v[32:33], v[28:29]
	s_mov_b32 s13, 0xbfed1bb4
	v_fma_f64 v[122:123], v[120:121], s[18:19], -v[124:125]
	v_add_f64 v[22:23], v[130:131], v[22:23]
	v_fma_f64 v[110:111], v[56:57], s[18:19], -v[110:111]
	v_mul_f64 v[126:127], v[16:17], s[12:13]
	v_add_f64 v[46:47], v[104:105], v[46:47]
	v_add_f64 v[106:107], v[0:1], v[6:7]
	v_mul_f64 v[0:1], v[8:9], s[12:13]
	v_fma_f64 v[6:7], v[114:115], s[14:15], v[18:19]
	v_add_f64 v[12:13], v[12:13], v[28:29]
	v_add_f64 v[104:105], v[122:123], v[22:23]
	v_mul_f64 v[18:19], v[14:15], s[16:17]
	v_fma_f64 v[22:23], v[20:21], s[14:15], v[126:127]
	v_add_f64 v[110:111], v[110:111], v[46:47]
	v_fma_f64 v[28:29], v[118:119], s[24:25], v[108:109]
	v_mul_f64 v[46:47], v[24:25], s[16:17]
	v_fma_f64 v[108:109], v[26:27], s[14:15], -v[0:1]
	v_add_f64 v[6:7], v[6:7], v[12:13]
	v_add_f64 v[10:11], v[34:35], v[10:11]
	;; [unrolled: 1-line block ×3, first 2 shown]
	v_fma_f64 v[128:129], v[30:31], s[18:19], v[18:19]
	v_add_f64 v[22:23], v[34:35], v[22:23]
	v_fma_f64 v[12:13], v[120:121], s[18:19], v[124:125]
	v_mul_f64 v[124:125], v[72:73], s[36:37]
	v_fma_f64 v[130:131], v[96:97], s[18:19], -v[46:47]
	v_add_f64 v[108:109], v[32:33], v[108:109]
	v_add_f64 v[6:7], v[28:29], v[6:7]
	v_fma_f64 v[28:29], v[20:21], s[14:15], -v[126:127]
	v_add_f64 v[4:5], v[10:11], v[4:5]
	v_add_f64 v[2:3], v[2:3], v[74:75]
	v_mul_f64 v[122:123], v[82:83], s[36:37]
	v_add_f64 v[22:23], v[128:129], v[22:23]
	v_mul_f64 v[126:127], v[112:113], s[34:35]
	v_fma_f64 v[128:129], v[114:115], s[20:21], -v[124:125]
	v_add_f64 v[108:109], v[130:131], v[108:109]
	v_fma_f64 v[18:19], v[30:31], s[18:19], -v[18:19]
	v_add_f64 v[28:29], v[34:35], v[28:29]
	v_add_f64 v[4:5], v[4:5], v[64:65]
	;; [unrolled: 1-line block ×3, first 2 shown]
	v_mul_f64 v[132:133], v[92:93], s[34:35]
	v_mul_f64 v[130:131], v[78:79], s[28:29]
	v_fma_f64 v[138:139], v[118:119], s[26:27], -v[126:127]
	v_add_f64 v[128:129], v[128:129], v[108:109]
	v_add_f64 v[108:109], v[12:13], v[6:7]
	v_fma_f64 v[12:13], v[80:81], s[20:21], -v[122:123]
	v_add_f64 v[18:19], v[18:19], v[28:29]
	v_mul_f64 v[16:17], v[16:17], s[30:31]
	v_add_f64 v[4:5], v[4:5], v[84:85]
	v_add_f64 v[2:3], v[2:3], v[86:87]
	v_mul_f64 v[8:9], v[8:9], s[30:31]
	v_fma_f64 v[134:135], v[80:81], s[20:21], v[122:123]
	v_fma_f64 v[6:7], v[56:57], s[24:25], v[130:131]
	;; [unrolled: 1-line block ×3, first 2 shown]
	v_add_f64 v[122:123], v[138:139], v[128:129]
	v_fma_f64 v[128:129], v[48:49], s[26:27], -v[132:133]
	v_add_f64 v[12:13], v[12:13], v[18:19]
	v_fma_f64 v[18:19], v[56:57], s[24:25], -v[130:131]
	v_mul_f64 v[14:15], v[14:15], s[12:13]
	v_fma_f64 v[130:131], v[20:21], s[24:25], v[16:17]
	v_fma_f64 v[16:17], v[20:21], s[24:25], -v[16:17]
	v_add_f64 v[4:5], v[4:5], v[76:77]
	v_add_f64 v[2:3], v[2:3], v[98:99]
	v_mul_f64 v[20:21], v[24:25], s[12:13]
	v_fma_f64 v[24:25], v[26:27], s[24:25], v[8:9]
	v_fma_f64 v[46:47], v[96:97], s[18:19], v[46:47]
	v_add_f64 v[0:1], v[32:33], v[0:1]
	v_add_f64 v[12:13], v[128:129], v[12:13]
	v_mul_f64 v[10:11], v[82:83], s[4:5]
	v_fma_f64 v[74:75], v[30:31], s[14:15], v[14:15]
	v_add_f64 v[82:83], v[34:35], v[130:131]
	v_mul_f64 v[72:73], v[72:73], s[4:5]
	v_fma_f64 v[8:9], v[26:27], s[24:25], -v[8:9]
	v_fma_f64 v[14:15], v[30:31], s[14:15], -v[14:15]
	v_add_f64 v[16:17], v[34:35], v[16:17]
	v_add_f64 v[4:5], v[4:5], v[68:69]
	v_add_f64 v[2:3], v[2:3], v[60:61]
	v_fma_f64 v[26:27], v[96:97], s[14:15], v[20:21]
	v_add_f64 v[24:25], v[32:33], v[24:25]
	v_add_f64 v[0:1], v[46:47], v[0:1]
	v_add_f64 v[46:47], v[18:19], v[12:13]
	v_mul_f64 v[12:13], v[92:93], s[16:17]
	v_fma_f64 v[18:19], v[80:81], s[26:27], v[10:11]
	v_add_f64 v[64:65], v[74:75], v[82:83]
	v_mul_f64 v[84:85], v[112:113], s[16:17]
	v_fma_f64 v[20:21], v[96:97], s[14:15], -v[20:21]
	v_add_f64 v[8:9], v[32:33], v[8:9]
	v_fma_f64 v[10:11], v[80:81], s[26:27], -v[10:11]
	v_add_f64 v[14:15], v[14:15], v[16:17]
	v_add_f64 v[4:5], v[4:5], v[70:71]
	;; [unrolled: 1-line block ×3, first 2 shown]
	v_fma_f64 v[16:17], v[114:115], s[26:27], v[72:73]
	v_add_f64 v[24:25], v[26:27], v[24:25]
	v_fma_f64 v[124:125], v[114:115], s[20:21], v[124:125]
	v_mul_f64 v[78:79], v[78:79], s[22:23]
	v_fma_f64 v[82:83], v[48:49], s[18:19], v[12:13]
	v_add_f64 v[18:19], v[18:19], v[64:65]
	v_mul_f64 v[64:65], v[116:117], s[22:23]
	v_fma_f64 v[26:27], v[114:115], s[26:27], -v[72:73]
	v_add_f64 v[8:9], v[20:21], v[8:9]
	v_fma_f64 v[12:13], v[48:49], s[18:19], -v[12:13]
	v_add_f64 v[10:11], v[10:11], v[14:15]
	v_add_f64 v[4:5], v[4:5], v[50:51]
	;; [unrolled: 1-line block ×3, first 2 shown]
	v_fma_f64 v[14:15], v[118:119], s[18:19], v[84:85]
	v_add_f64 v[16:17], v[16:17], v[24:25]
	v_add_f64 v[22:23], v[134:135], v[22:23]
	v_mul_f64 v[134:135], v[116:117], s[28:29]
	v_fma_f64 v[126:127], v[118:119], s[26:27], v[126:127]
	v_add_f64 v[0:1], v[124:125], v[0:1]
	v_fma_f64 v[136:137], v[48:49], s[26:27], v[132:133]
	v_fma_f64 v[20:21], v[118:119], s[18:19], -v[84:85]
	v_add_f64 v[8:9], v[26:27], v[8:9]
	v_fma_f64 v[24:25], v[56:57], s[20:21], -v[78:79]
	v_add_f64 v[10:11], v[12:13], v[10:11]
	v_add_f64 v[4:5], v[4:5], v[44:45]
	v_add_f64 v[2:3], v[2:3], v[66:67]
	v_fma_f64 v[12:13], v[120:121], s[20:21], v[64:65]
	v_add_f64 v[14:15], v[14:15], v[16:17]
	v_fma_f64 v[74:75], v[120:121], s[24:25], v[134:135]
	v_add_f64 v[0:1], v[126:127], v[0:1]
	v_add_f64 v[22:23], v[136:137], v[22:23]
	v_fma_f64 v[28:29], v[120:121], s[24:25], -v[134:135]
	v_fma_f64 v[16:17], v[56:57], s[20:21], v[78:79]
	v_add_f64 v[18:19], v[82:83], v[18:19]
	v_fma_f64 v[26:27], v[120:121], s[20:21], -v[64:65]
	v_add_f64 v[8:9], v[20:21], v[8:9]
	v_add_f64 v[34:35], v[4:5], v[42:43]
	;; [unrolled: 1-line block ×6, first 2 shown]
	v_lshl_add_u32 v0, v156, 4, v190
	v_add_f64 v[50:51], v[6:7], v[22:23]
	v_add_f64 v[48:49], v[28:29], v[122:123]
	;; [unrolled: 1-line block ×4, first 2 shown]
	ds_write_b128 v189, v[32:35]
	ds_write_b128 v0, v[40:43] offset:1152
	ds_write_b128 v0, v[44:47] offset:2304
	;; [unrolled: 1-line block ×10, first 2 shown]
.LBB0_37:
	s_or_b64 exec, exec, s[2:3]
	s_waitcnt lgkmcnt(0)
	s_barrier
	ds_read_b128 v[32:35], v189
	ds_read_b128 v[36:39], v189 offset:1408
	buffer_load_dword v9, off, s[48:51], 0 offset:80 ; 4-byte Folded Reload
	buffer_load_dword v10, off, s[48:51], 0 offset:84 ; 4-byte Folded Reload
	;; [unrolled: 1-line block ×4, first 2 shown]
	v_mad_u64_u32 v[0:1], s[2:3], s10, v205, 0
	ds_read_b128 v[28:31], v189 offset:6336
	ds_read_b128 v[40:43], v189 offset:7744
	v_mad_u64_u32 v[7:8], s[2:3], s8, v156, 0
	s_waitcnt vmcnt(0) lgkmcnt(3)
	v_mul_f64 v[2:3], v[11:12], v[34:35]
	v_mad_u64_u32 v[4:5], s[2:3], s11, v205, v[1:2]
	v_mul_f64 v[5:6], v[11:12], v[32:33]
	v_fma_f64 v[2:3], v[9:10], v[32:33], v[2:3]
	v_mov_b32_e32 v1, v4
	s_mov_b32 s2, 0xa052bf5b
	s_mov_b32 s3, 0x3f54afd6
	v_lshlrev_b64 v[0:1], 4, v[0:1]
	v_fma_f64 v[4:5], v[9:10], v[34:35], -v[5:6]
	v_mul_f64 v[32:33], v[2:3], s[2:3]
	s_waitcnt lgkmcnt(1)
	v_mul_f64 v[2:3], v[203:204], v[30:31]
	v_mov_b32_e32 v6, v8
	v_mad_u64_u32 v[8:9], s[4:5], s9, v156, v[6:7]
	v_mov_b32_e32 v6, s7
	v_add_co_u32_e32 v9, vcc, s6, v0
	v_mul_f64 v[34:35], v[4:5], s[2:3]
	v_addc_co_u32_e32 v10, vcc, v6, v1, vcc
	v_fma_f64 v[0:1], v[201:202], v[28:29], v[2:3]
	v_lshlrev_b64 v[2:3], 4, v[7:8]
	v_mul_f64 v[4:5], v[203:204], v[28:29]
	v_add_co_u32_e32 v2, vcc, v9, v2
	v_addc_co_u32_e32 v3, vcc, v10, v3, vcc
	global_store_dwordx4 v[2:3], v[32:35], off
	buffer_load_dword v10, off, s[48:51], 0 offset:48 ; 4-byte Folded Reload
	buffer_load_dword v11, off, s[48:51], 0 offset:52 ; 4-byte Folded Reload
	;; [unrolled: 1-line block ×4, first 2 shown]
	s_mul_i32 s4, s9, 0x18c
	v_fma_f64 v[6:7], v[201:202], v[30:31], -v[4:5]
	v_mul_f64 v[4:5], v[0:1], s[2:3]
	s_mul_hi_u32 s5, s8, 0x18c
	s_add_i32 s5, s5, s4
	s_mul_i32 s4, s8, 0x18c
	s_lshl_b64 s[4:5], s[4:5], 4
	v_mov_b32_e32 v22, s5
	v_add_co_u32_e32 v2, vcc, s4, v2
	v_mul_f64 v[6:7], v[6:7], s[2:3]
	v_addc_co_u32_e32 v3, vcc, v3, v22, vcc
	s_mul_hi_u32 s7, s8, 0xfffffecc
	s_mul_i32 s6, s9, 0xfffffecc
	s_sub_i32 s7, s7, s8
	s_add_i32 s7, s7, s6
	s_mul_i32 s6, s8, 0xfffffecc
	global_store_dwordx4 v[2:3], v[4:7], off
	s_lshl_b64 s[6:7], s[6:7], 4
	v_mov_b32_e32 v23, s7
	v_add_co_u32_e32 v14, vcc, s6, v2
	v_addc_co_u32_e32 v15, vcc, v3, v23, vcc
	s_waitcnt vmcnt(1)
	v_mul_f64 v[0:1], v[12:13], v[38:39]
	v_mul_f64 v[8:9], v[12:13], v[36:37]
	v_fma_f64 v[0:1], v[10:11], v[36:37], v[0:1]
	v_fma_f64 v[8:9], v[10:11], v[38:39], -v[8:9]
	buffer_load_dword v10, off, s[48:51], 0 offset:32 ; 4-byte Folded Reload
	buffer_load_dword v11, off, s[48:51], 0 offset:36 ; 4-byte Folded Reload
	;; [unrolled: 1-line block ×4, first 2 shown]
	ds_read_b128 v[18:21], v189 offset:2816
	ds_read_b128 v[28:31], v189 offset:4224
	buffer_load_dword v24, off, s[48:51], 0 offset:164 ; 4-byte Folded Reload
	buffer_load_dword v25, off, s[48:51], 0 offset:168 ; 4-byte Folded Reload
	;; [unrolled: 1-line block ×4, first 2 shown]
	ds_read_b128 v[32:35], v189 offset:9152
	v_mul_f64 v[4:5], v[0:1], s[2:3]
	v_mul_f64 v[6:7], v[8:9], s[2:3]
	global_store_dwordx4 v[14:15], v[4:7], off
	s_waitcnt vmcnt(5) lgkmcnt(3)
	v_mul_f64 v[0:1], v[12:13], v[42:43]
	v_mul_f64 v[8:9], v[12:13], v[40:41]
	s_waitcnt vmcnt(1) lgkmcnt(2)
	v_mul_f64 v[12:13], v[26:27], v[18:19]
	v_fma_f64 v[0:1], v[10:11], v[40:41], v[0:1]
	v_fma_f64 v[8:9], v[10:11], v[42:43], -v[8:9]
	v_mul_f64 v[10:11], v[26:27], v[20:21]
	v_fma_f64 v[6:7], v[24:25], v[20:21], -v[12:13]
	v_add_co_u32_e32 v12, vcc, s4, v14
	v_addc_co_u32_e32 v13, vcc, v15, v22, vcc
	v_mul_f64 v[2:3], v[0:1], s[2:3]
	v_mul_f64 v[4:5], v[8:9], s[2:3]
	v_fma_f64 v[0:1], v[24:25], v[18:19], v[10:11]
	ds_read_b128 v[16:19], v189 offset:10560
	buffer_load_dword v24, off, s[48:51], 0 ; 4-byte Folded Reload
	buffer_load_dword v25, off, s[48:51], 0 offset:4 ; 4-byte Folded Reload
	buffer_load_dword v26, off, s[48:51], 0 offset:8 ; 4-byte Folded Reload
	;; [unrolled: 1-line block ×3, first 2 shown]
	v_mul_f64 v[0:1], v[0:1], s[2:3]
	global_store_dwordx4 v[12:13], v[2:5], off
	v_add_co_u32_e32 v12, vcc, s6, v12
	v_mul_f64 v[2:3], v[6:7], s[2:3]
	v_addc_co_u32_e32 v13, vcc, v13, v23, vcc
	s_waitcnt vmcnt(1) lgkmcnt(1)
	v_mul_f64 v[8:9], v[26:27], v[34:35]
	v_mul_f64 v[10:11], v[26:27], v[32:33]
	v_fma_f64 v[4:5], v[24:25], v[32:33], v[8:9]
	v_fma_f64 v[6:7], v[24:25], v[34:35], -v[10:11]
	buffer_load_dword v24, off, s[48:51], 0 offset:16 ; 4-byte Folded Reload
	buffer_load_dword v25, off, s[48:51], 0 offset:20 ; 4-byte Folded Reload
	;; [unrolled: 1-line block ×8, first 2 shown]
	s_waitcnt vmcnt(4)
	v_mul_f64 v[8:9], v[26:27], v[30:31]
	v_mul_f64 v[10:11], v[26:27], v[28:29]
	s_waitcnt vmcnt(0) lgkmcnt(0)
	v_mul_f64 v[14:15], v[34:35], v[18:19]
	v_mul_f64 v[20:21], v[34:35], v[16:17]
	global_store_dwordx4 v[12:13], v[0:3], off
	v_add_co_u32_e32 v12, vcc, s4, v12
	v_mul_f64 v[0:1], v[4:5], s[2:3]
	v_mul_f64 v[2:3], v[6:7], s[2:3]
	v_fma_f64 v[4:5], v[24:25], v[28:29], v[8:9]
	v_fma_f64 v[6:7], v[24:25], v[30:31], -v[10:11]
	v_fma_f64 v[8:9], v[32:33], v[16:17], v[14:15]
	v_fma_f64 v[10:11], v[32:33], v[18:19], -v[20:21]
	v_addc_co_u32_e32 v13, vcc, v13, v22, vcc
	global_store_dwordx4 v[12:13], v[0:3], off
	v_mul_f64 v[4:5], v[4:5], s[2:3]
	v_mul_f64 v[6:7], v[6:7], s[2:3]
	;; [unrolled: 1-line block ×4, first 2 shown]
	v_add_co_u32_e32 v0, vcc, s6, v12
	v_addc_co_u32_e32 v1, vcc, v13, v23, vcc
	global_store_dwordx4 v[0:1], v[4:7], off
	v_add_co_u32_e32 v0, vcc, s4, v0
	v_addc_co_u32_e32 v1, vcc, v1, v22, vcc
	global_store_dwordx4 v[0:1], v[8:11], off
	s_and_b64 exec, exec, s[0:1]
	s_cbranch_execz .LBB0_39
; %bb.38:
	v_add_co_u32_e32 v2, vcc, 0x1000, v255
	v_addc_co_u32_e32 v3, vcc, 0, v195, vcc
	s_movk_i32 s0, 0x2000
	v_add_co_u32_e32 v6, vcc, s0, v255
	global_load_dwordx4 v[2:5], v[2:3], off offset:1536
	v_addc_co_u32_e32 v7, vcc, 0, v195, vcc
	global_load_dwordx4 v[6:9], v[6:7], off offset:3776
	ds_read_b128 v[10:13], v189 offset:5632
	ds_read_b128 v[14:17], v189 offset:11968
	v_add_co_u32_e32 v0, vcc, s6, v0
	s_waitcnt vmcnt(1) lgkmcnt(1)
	v_mul_f64 v[18:19], v[12:13], v[4:5]
	v_mul_f64 v[4:5], v[10:11], v[4:5]
	s_waitcnt vmcnt(0) lgkmcnt(0)
	v_mul_f64 v[20:21], v[16:17], v[8:9]
	v_mul_f64 v[8:9], v[14:15], v[8:9]
	v_fma_f64 v[10:11], v[10:11], v[2:3], v[18:19]
	v_fma_f64 v[4:5], v[2:3], v[12:13], -v[4:5]
	v_fma_f64 v[12:13], v[14:15], v[6:7], v[20:21]
	v_fma_f64 v[8:9], v[6:7], v[16:17], -v[8:9]
	v_mov_b32_e32 v14, s7
	v_addc_co_u32_e32 v1, vcc, v1, v14, vcc
	v_mul_f64 v[2:3], v[10:11], s[2:3]
	v_mul_f64 v[4:5], v[4:5], s[2:3]
	v_mov_b32_e32 v15, s5
	v_mul_f64 v[6:7], v[12:13], s[2:3]
	v_mul_f64 v[8:9], v[8:9], s[2:3]
	v_add_co_u32_e32 v10, vcc, s4, v0
	v_addc_co_u32_e32 v11, vcc, v1, v15, vcc
	global_store_dwordx4 v[0:1], v[2:5], off
	global_store_dwordx4 v[10:11], v[6:9], off
.LBB0_39:
	s_endpgm
	.section	.rodata,"a",@progbits
	.p2align	6, 0x0
	.amdhsa_kernel bluestein_single_back_len792_dim1_dp_op_CI_CI
		.amdhsa_group_segment_fixed_size 25344
		.amdhsa_private_segment_fixed_size 500
		.amdhsa_kernarg_size 104
		.amdhsa_user_sgpr_count 6
		.amdhsa_user_sgpr_private_segment_buffer 1
		.amdhsa_user_sgpr_dispatch_ptr 0
		.amdhsa_user_sgpr_queue_ptr 0
		.amdhsa_user_sgpr_kernarg_segment_ptr 1
		.amdhsa_user_sgpr_dispatch_id 0
		.amdhsa_user_sgpr_flat_scratch_init 0
		.amdhsa_user_sgpr_private_segment_size 0
		.amdhsa_uses_dynamic_stack 0
		.amdhsa_system_sgpr_private_segment_wavefront_offset 1
		.amdhsa_system_sgpr_workgroup_id_x 1
		.amdhsa_system_sgpr_workgroup_id_y 0
		.amdhsa_system_sgpr_workgroup_id_z 0
		.amdhsa_system_sgpr_workgroup_info 0
		.amdhsa_system_vgpr_workitem_id 0
		.amdhsa_next_free_vgpr 256
		.amdhsa_next_free_sgpr 52
		.amdhsa_reserve_vcc 1
		.amdhsa_reserve_flat_scratch 0
		.amdhsa_float_round_mode_32 0
		.amdhsa_float_round_mode_16_64 0
		.amdhsa_float_denorm_mode_32 3
		.amdhsa_float_denorm_mode_16_64 3
		.amdhsa_dx10_clamp 1
		.amdhsa_ieee_mode 1
		.amdhsa_fp16_overflow 0
		.amdhsa_exception_fp_ieee_invalid_op 0
		.amdhsa_exception_fp_denorm_src 0
		.amdhsa_exception_fp_ieee_div_zero 0
		.amdhsa_exception_fp_ieee_overflow 0
		.amdhsa_exception_fp_ieee_underflow 0
		.amdhsa_exception_fp_ieee_inexact 0
		.amdhsa_exception_int_div_zero 0
	.end_amdhsa_kernel
	.text
.Lfunc_end0:
	.size	bluestein_single_back_len792_dim1_dp_op_CI_CI, .Lfunc_end0-bluestein_single_back_len792_dim1_dp_op_CI_CI
                                        ; -- End function
	.section	.AMDGPU.csdata,"",@progbits
; Kernel info:
; codeLenInByte = 18152
; NumSgprs: 56
; NumVgprs: 256
; ScratchSize: 500
; MemoryBound: 0
; FloatMode: 240
; IeeeMode: 1
; LDSByteSize: 25344 bytes/workgroup (compile time only)
; SGPRBlocks: 6
; VGPRBlocks: 63
; NumSGPRsForWavesPerEU: 56
; NumVGPRsForWavesPerEU: 256
; Occupancy: 1
; WaveLimiterHint : 1
; COMPUTE_PGM_RSRC2:SCRATCH_EN: 1
; COMPUTE_PGM_RSRC2:USER_SGPR: 6
; COMPUTE_PGM_RSRC2:TRAP_HANDLER: 0
; COMPUTE_PGM_RSRC2:TGID_X_EN: 1
; COMPUTE_PGM_RSRC2:TGID_Y_EN: 0
; COMPUTE_PGM_RSRC2:TGID_Z_EN: 0
; COMPUTE_PGM_RSRC2:TIDIG_COMP_CNT: 0
	.type	__hip_cuid_fa842f80ffcbacd0,@object ; @__hip_cuid_fa842f80ffcbacd0
	.section	.bss,"aw",@nobits
	.globl	__hip_cuid_fa842f80ffcbacd0
__hip_cuid_fa842f80ffcbacd0:
	.byte	0                               ; 0x0
	.size	__hip_cuid_fa842f80ffcbacd0, 1

	.ident	"AMD clang version 19.0.0git (https://github.com/RadeonOpenCompute/llvm-project roc-6.4.0 25133 c7fe45cf4b819c5991fe208aaa96edf142730f1d)"
	.section	".note.GNU-stack","",@progbits
	.addrsig
	.addrsig_sym __hip_cuid_fa842f80ffcbacd0
	.amdgpu_metadata
---
amdhsa.kernels:
  - .args:
      - .actual_access:  read_only
        .address_space:  global
        .offset:         0
        .size:           8
        .value_kind:     global_buffer
      - .actual_access:  read_only
        .address_space:  global
        .offset:         8
        .size:           8
        .value_kind:     global_buffer
      - .actual_access:  read_only
        .address_space:  global
        .offset:         16
        .size:           8
        .value_kind:     global_buffer
      - .actual_access:  read_only
        .address_space:  global
        .offset:         24
        .size:           8
        .value_kind:     global_buffer
      - .actual_access:  read_only
        .address_space:  global
        .offset:         32
        .size:           8
        .value_kind:     global_buffer
      - .offset:         40
        .size:           8
        .value_kind:     by_value
      - .address_space:  global
        .offset:         48
        .size:           8
        .value_kind:     global_buffer
      - .address_space:  global
        .offset:         56
        .size:           8
        .value_kind:     global_buffer
      - .address_space:  global
        .offset:         64
        .size:           8
        .value_kind:     global_buffer
      - .address_space:  global
        .offset:         72
        .size:           8
        .value_kind:     global_buffer
      - .offset:         80
        .size:           4
        .value_kind:     by_value
      - .address_space:  global
        .offset:         88
        .size:           8
        .value_kind:     global_buffer
      - .address_space:  global
        .offset:         96
        .size:           8
        .value_kind:     global_buffer
    .group_segment_fixed_size: 25344
    .kernarg_segment_align: 8
    .kernarg_segment_size: 104
    .language:       OpenCL C
    .language_version:
      - 2
      - 0
    .max_flat_workgroup_size: 176
    .name:           bluestein_single_back_len792_dim1_dp_op_CI_CI
    .private_segment_fixed_size: 500
    .sgpr_count:     56
    .sgpr_spill_count: 0
    .symbol:         bluestein_single_back_len792_dim1_dp_op_CI_CI.kd
    .uniform_work_group_size: 1
    .uses_dynamic_stack: false
    .vgpr_count:     256
    .vgpr_spill_count: 124
    .wavefront_size: 64
amdhsa.target:   amdgcn-amd-amdhsa--gfx906
amdhsa.version:
  - 1
  - 2
...

	.end_amdgpu_metadata
